;; amdgpu-corpus repo=ROCm/rocFFT kind=compiled arch=gfx1201 opt=O3
	.text
	.amdgcn_target "amdgcn-amd-amdhsa--gfx1201"
	.amdhsa_code_object_version 6
	.protected	fft_rtc_back_len1496_factors_17_8_11_wgs_187_tpt_187_halfLds_sp_op_CI_CI_unitstride_sbrr_R2C_dirReg ; -- Begin function fft_rtc_back_len1496_factors_17_8_11_wgs_187_tpt_187_halfLds_sp_op_CI_CI_unitstride_sbrr_R2C_dirReg
	.globl	fft_rtc_back_len1496_factors_17_8_11_wgs_187_tpt_187_halfLds_sp_op_CI_CI_unitstride_sbrr_R2C_dirReg
	.p2align	8
	.type	fft_rtc_back_len1496_factors_17_8_11_wgs_187_tpt_187_halfLds_sp_op_CI_CI_unitstride_sbrr_R2C_dirReg,@function
fft_rtc_back_len1496_factors_17_8_11_wgs_187_tpt_187_halfLds_sp_op_CI_CI_unitstride_sbrr_R2C_dirReg: ; @fft_rtc_back_len1496_factors_17_8_11_wgs_187_tpt_187_halfLds_sp_op_CI_CI_unitstride_sbrr_R2C_dirReg
; %bb.0:
	s_clause 0x2
	s_load_b128 s[8:11], s[0:1], 0x0
	s_load_b128 s[4:7], s[0:1], 0x58
	;; [unrolled: 1-line block ×3, first 2 shown]
	v_mul_u32_u24_e32 v1, 0x15f, v0
	v_mov_b32_e32 v3, 0
	s_delay_alu instid0(VALU_DEP_2) | instskip(NEXT) | instid1(VALU_DEP_1)
	v_lshrrev_b32_e32 v1, 16, v1
	v_add_nc_u32_e32 v5, ttmp9, v1
	v_mov_b32_e32 v1, 0
	v_mov_b32_e32 v2, 0
	;; [unrolled: 1-line block ×3, first 2 shown]
	s_wait_kmcnt 0x0
	v_cmp_lt_u64_e64 s2, s[10:11], 2
	s_delay_alu instid0(VALU_DEP_1)
	s_and_b32 vcc_lo, exec_lo, s2
	s_cbranch_vccnz .LBB0_8
; %bb.1:
	s_load_b64 s[2:3], s[0:1], 0x10
	v_mov_b32_e32 v1, 0
	v_mov_b32_e32 v2, 0
	s_add_nc_u64 s[16:17], s[14:15], 8
	s_add_nc_u64 s[18:19], s[12:13], 8
	s_mov_b64 s[20:21], 1
	s_delay_alu instid0(VALU_DEP_1)
	v_dual_mov_b32 v37, v2 :: v_dual_mov_b32 v36, v1
	s_wait_kmcnt 0x0
	s_add_nc_u64 s[22:23], s[2:3], 8
	s_mov_b32 s3, 0
.LBB0_2:                                ; =>This Inner Loop Header: Depth=1
	s_load_b64 s[24:25], s[22:23], 0x0
                                        ; implicit-def: $vgpr40_vgpr41
	s_mov_b32 s2, exec_lo
	s_wait_kmcnt 0x0
	v_or_b32_e32 v4, s25, v6
	s_delay_alu instid0(VALU_DEP_1)
	v_cmpx_ne_u64_e32 0, v[3:4]
	s_wait_alu 0xfffe
	s_xor_b32 s26, exec_lo, s2
	s_cbranch_execz .LBB0_4
; %bb.3:                                ;   in Loop: Header=BB0_2 Depth=1
	s_cvt_f32_u32 s2, s24
	s_cvt_f32_u32 s27, s25
	s_sub_nc_u64 s[30:31], 0, s[24:25]
	s_wait_alu 0xfffe
	s_delay_alu instid0(SALU_CYCLE_1) | instskip(SKIP_1) | instid1(SALU_CYCLE_2)
	s_fmamk_f32 s2, s27, 0x4f800000, s2
	s_wait_alu 0xfffe
	v_s_rcp_f32 s2, s2
	s_delay_alu instid0(TRANS32_DEP_1) | instskip(SKIP_1) | instid1(SALU_CYCLE_2)
	s_mul_f32 s2, s2, 0x5f7ffffc
	s_wait_alu 0xfffe
	s_mul_f32 s27, s2, 0x2f800000
	s_wait_alu 0xfffe
	s_delay_alu instid0(SALU_CYCLE_2) | instskip(SKIP_1) | instid1(SALU_CYCLE_2)
	s_trunc_f32 s27, s27
	s_wait_alu 0xfffe
	s_fmamk_f32 s2, s27, 0xcf800000, s2
	s_cvt_u32_f32 s29, s27
	s_wait_alu 0xfffe
	s_delay_alu instid0(SALU_CYCLE_1) | instskip(SKIP_1) | instid1(SALU_CYCLE_2)
	s_cvt_u32_f32 s28, s2
	s_wait_alu 0xfffe
	s_mul_u64 s[34:35], s[30:31], s[28:29]
	s_wait_alu 0xfffe
	s_mul_hi_u32 s37, s28, s35
	s_mul_i32 s36, s28, s35
	s_mul_hi_u32 s2, s28, s34
	s_mul_i32 s33, s29, s34
	s_wait_alu 0xfffe
	s_add_nc_u64 s[36:37], s[2:3], s[36:37]
	s_mul_hi_u32 s27, s29, s34
	s_mul_hi_u32 s38, s29, s35
	s_add_co_u32 s2, s36, s33
	s_wait_alu 0xfffe
	s_add_co_ci_u32 s2, s37, s27
	s_mul_i32 s34, s29, s35
	s_add_co_ci_u32 s35, s38, 0
	s_wait_alu 0xfffe
	s_add_nc_u64 s[34:35], s[2:3], s[34:35]
	s_wait_alu 0xfffe
	v_add_co_u32 v4, s2, s28, s34
	s_delay_alu instid0(VALU_DEP_1) | instskip(SKIP_1) | instid1(VALU_DEP_1)
	s_cmp_lg_u32 s2, 0
	s_add_co_ci_u32 s29, s29, s35
	v_readfirstlane_b32 s28, v4
	s_wait_alu 0xfffe
	s_delay_alu instid0(VALU_DEP_1)
	s_mul_u64 s[30:31], s[30:31], s[28:29]
	s_wait_alu 0xfffe
	s_mul_hi_u32 s35, s28, s31
	s_mul_i32 s34, s28, s31
	s_mul_hi_u32 s2, s28, s30
	s_mul_i32 s33, s29, s30
	s_wait_alu 0xfffe
	s_add_nc_u64 s[34:35], s[2:3], s[34:35]
	s_mul_hi_u32 s27, s29, s30
	s_mul_hi_u32 s28, s29, s31
	s_wait_alu 0xfffe
	s_add_co_u32 s2, s34, s33
	s_add_co_ci_u32 s2, s35, s27
	s_mul_i32 s30, s29, s31
	s_add_co_ci_u32 s31, s28, 0
	s_wait_alu 0xfffe
	s_add_nc_u64 s[30:31], s[2:3], s[30:31]
	s_wait_alu 0xfffe
	v_add_co_u32 v4, s2, v4, s30
	s_delay_alu instid0(VALU_DEP_1) | instskip(SKIP_1) | instid1(VALU_DEP_1)
	s_cmp_lg_u32 s2, 0
	s_add_co_ci_u32 s2, s29, s31
	v_mul_hi_u32 v13, v5, v4
	s_wait_alu 0xfffe
	v_mad_co_u64_u32 v[7:8], null, v5, s2, 0
	v_mad_co_u64_u32 v[9:10], null, v6, v4, 0
	;; [unrolled: 1-line block ×3, first 2 shown]
	s_delay_alu instid0(VALU_DEP_3) | instskip(SKIP_1) | instid1(VALU_DEP_4)
	v_add_co_u32 v4, vcc_lo, v13, v7
	s_wait_alu 0xfffd
	v_add_co_ci_u32_e32 v7, vcc_lo, 0, v8, vcc_lo
	s_delay_alu instid0(VALU_DEP_2) | instskip(SKIP_1) | instid1(VALU_DEP_2)
	v_add_co_u32 v4, vcc_lo, v4, v9
	s_wait_alu 0xfffd
	v_add_co_ci_u32_e32 v4, vcc_lo, v7, v10, vcc_lo
	s_wait_alu 0xfffd
	v_add_co_ci_u32_e32 v7, vcc_lo, 0, v12, vcc_lo
	s_delay_alu instid0(VALU_DEP_2) | instskip(SKIP_1) | instid1(VALU_DEP_2)
	v_add_co_u32 v4, vcc_lo, v4, v11
	s_wait_alu 0xfffd
	v_add_co_ci_u32_e32 v9, vcc_lo, 0, v7, vcc_lo
	s_delay_alu instid0(VALU_DEP_2) | instskip(SKIP_1) | instid1(VALU_DEP_3)
	v_mul_lo_u32 v10, s25, v4
	v_mad_co_u64_u32 v[7:8], null, s24, v4, 0
	v_mul_lo_u32 v11, s24, v9
	s_delay_alu instid0(VALU_DEP_2) | instskip(NEXT) | instid1(VALU_DEP_2)
	v_sub_co_u32 v7, vcc_lo, v5, v7
	v_add3_u32 v8, v8, v11, v10
	s_delay_alu instid0(VALU_DEP_1) | instskip(SKIP_1) | instid1(VALU_DEP_1)
	v_sub_nc_u32_e32 v10, v6, v8
	s_wait_alu 0xfffd
	v_subrev_co_ci_u32_e64 v10, s2, s25, v10, vcc_lo
	v_add_co_u32 v11, s2, v4, 2
	s_wait_alu 0xf1ff
	v_add_co_ci_u32_e64 v12, s2, 0, v9, s2
	v_sub_co_u32 v13, s2, v7, s24
	v_sub_co_ci_u32_e32 v8, vcc_lo, v6, v8, vcc_lo
	s_wait_alu 0xf1ff
	v_subrev_co_ci_u32_e64 v10, s2, 0, v10, s2
	s_delay_alu instid0(VALU_DEP_3) | instskip(NEXT) | instid1(VALU_DEP_3)
	v_cmp_le_u32_e32 vcc_lo, s24, v13
	v_cmp_eq_u32_e64 s2, s25, v8
	s_wait_alu 0xfffd
	v_cndmask_b32_e64 v13, 0, -1, vcc_lo
	v_cmp_le_u32_e32 vcc_lo, s25, v10
	s_wait_alu 0xfffd
	v_cndmask_b32_e64 v14, 0, -1, vcc_lo
	v_cmp_le_u32_e32 vcc_lo, s24, v7
	;; [unrolled: 3-line block ×3, first 2 shown]
	s_wait_alu 0xfffd
	v_cndmask_b32_e64 v15, 0, -1, vcc_lo
	v_cmp_eq_u32_e32 vcc_lo, s25, v10
	s_wait_alu 0xf1ff
	s_delay_alu instid0(VALU_DEP_2)
	v_cndmask_b32_e64 v7, v15, v7, s2
	s_wait_alu 0xfffd
	v_cndmask_b32_e32 v10, v14, v13, vcc_lo
	v_add_co_u32 v13, vcc_lo, v4, 1
	s_wait_alu 0xfffd
	v_add_co_ci_u32_e32 v14, vcc_lo, 0, v9, vcc_lo
	s_delay_alu instid0(VALU_DEP_3) | instskip(SKIP_1) | instid1(VALU_DEP_2)
	v_cmp_ne_u32_e32 vcc_lo, 0, v10
	s_wait_alu 0xfffd
	v_cndmask_b32_e32 v8, v14, v12, vcc_lo
	v_cndmask_b32_e32 v10, v13, v11, vcc_lo
	v_cmp_ne_u32_e32 vcc_lo, 0, v7
	s_wait_alu 0xfffd
	s_delay_alu instid0(VALU_DEP_2)
	v_dual_cndmask_b32 v41, v9, v8 :: v_dual_cndmask_b32 v40, v4, v10
.LBB0_4:                                ;   in Loop: Header=BB0_2 Depth=1
	s_wait_alu 0xfffe
	s_and_not1_saveexec_b32 s2, s26
	s_cbranch_execz .LBB0_6
; %bb.5:                                ;   in Loop: Header=BB0_2 Depth=1
	v_cvt_f32_u32_e32 v4, s24
	s_sub_co_i32 s26, 0, s24
	v_mov_b32_e32 v41, v3
	s_delay_alu instid0(VALU_DEP_2) | instskip(NEXT) | instid1(TRANS32_DEP_1)
	v_rcp_iflag_f32_e32 v4, v4
	v_mul_f32_e32 v4, 0x4f7ffffe, v4
	s_delay_alu instid0(VALU_DEP_1) | instskip(SKIP_1) | instid1(VALU_DEP_1)
	v_cvt_u32_f32_e32 v4, v4
	s_wait_alu 0xfffe
	v_mul_lo_u32 v7, s26, v4
	s_delay_alu instid0(VALU_DEP_1) | instskip(NEXT) | instid1(VALU_DEP_1)
	v_mul_hi_u32 v7, v4, v7
	v_add_nc_u32_e32 v4, v4, v7
	s_delay_alu instid0(VALU_DEP_1) | instskip(NEXT) | instid1(VALU_DEP_1)
	v_mul_hi_u32 v4, v5, v4
	v_mul_lo_u32 v7, v4, s24
	v_add_nc_u32_e32 v8, 1, v4
	s_delay_alu instid0(VALU_DEP_2) | instskip(NEXT) | instid1(VALU_DEP_1)
	v_sub_nc_u32_e32 v7, v5, v7
	v_subrev_nc_u32_e32 v9, s24, v7
	v_cmp_le_u32_e32 vcc_lo, s24, v7
	s_wait_alu 0xfffd
	s_delay_alu instid0(VALU_DEP_2) | instskip(NEXT) | instid1(VALU_DEP_1)
	v_dual_cndmask_b32 v7, v7, v9 :: v_dual_cndmask_b32 v4, v4, v8
	v_cmp_le_u32_e32 vcc_lo, s24, v7
	s_delay_alu instid0(VALU_DEP_2) | instskip(SKIP_1) | instid1(VALU_DEP_1)
	v_add_nc_u32_e32 v8, 1, v4
	s_wait_alu 0xfffd
	v_cndmask_b32_e32 v40, v4, v8, vcc_lo
.LBB0_6:                                ;   in Loop: Header=BB0_2 Depth=1
	s_wait_alu 0xfffe
	s_or_b32 exec_lo, exec_lo, s2
	v_mul_lo_u32 v4, v41, s24
	s_delay_alu instid0(VALU_DEP_2)
	v_mul_lo_u32 v9, v40, s25
	s_load_b64 s[26:27], s[18:19], 0x0
	v_mad_co_u64_u32 v[7:8], null, v40, s24, 0
	s_load_b64 s[24:25], s[16:17], 0x0
	s_add_nc_u64 s[20:21], s[20:21], 1
	s_add_nc_u64 s[16:17], s[16:17], 8
	s_wait_alu 0xfffe
	v_cmp_ge_u64_e64 s2, s[20:21], s[10:11]
	s_add_nc_u64 s[18:19], s[18:19], 8
	s_add_nc_u64 s[22:23], s[22:23], 8
	v_add3_u32 v4, v8, v9, v4
	v_sub_co_u32 v5, vcc_lo, v5, v7
	s_wait_alu 0xfffd
	s_delay_alu instid0(VALU_DEP_2) | instskip(SKIP_2) | instid1(VALU_DEP_1)
	v_sub_co_ci_u32_e32 v4, vcc_lo, v6, v4, vcc_lo
	s_and_b32 vcc_lo, exec_lo, s2
	s_wait_kmcnt 0x0
	v_mul_lo_u32 v6, s26, v4
	v_mul_lo_u32 v7, s27, v5
	v_mad_co_u64_u32 v[1:2], null, s26, v5, v[1:2]
	v_mul_lo_u32 v4, s24, v4
	v_mul_lo_u32 v8, s25, v5
	v_mad_co_u64_u32 v[36:37], null, s24, v5, v[36:37]
	s_delay_alu instid0(VALU_DEP_4) | instskip(NEXT) | instid1(VALU_DEP_2)
	v_add3_u32 v2, v7, v2, v6
	v_add3_u32 v37, v8, v37, v4
	s_wait_alu 0xfffe
	s_cbranch_vccnz .LBB0_9
; %bb.7:                                ;   in Loop: Header=BB0_2 Depth=1
	v_dual_mov_b32 v5, v40 :: v_dual_mov_b32 v6, v41
	s_branch .LBB0_2
.LBB0_8:
	v_dual_mov_b32 v37, v2 :: v_dual_mov_b32 v36, v1
	v_dual_mov_b32 v41, v6 :: v_dual_mov_b32 v40, v5
.LBB0_9:
	s_load_b64 s[0:1], s[0:1], 0x28
	v_mul_hi_u32 v3, 0x15e75bc, v0
                                        ; implicit-def: $vgpr38
	s_wait_kmcnt 0x0
	s_delay_alu instid0(VALU_DEP_2) | instskip(SKIP_1) | instid1(VALU_DEP_1)
	v_cmp_gt_u64_e32 vcc_lo, s[0:1], v[40:41]
	v_cmp_le_u64_e64 s0, s[0:1], v[40:41]
	s_and_saveexec_b32 s1, s0
	s_wait_alu 0xfffe
	s_xor_b32 s0, exec_lo, s1
; %bb.10:
	s_delay_alu instid0(VALU_DEP_3) | instskip(NEXT) | instid1(VALU_DEP_1)
	v_mul_u32_u24_e32 v1, 0xbb, v3
                                        ; implicit-def: $vgpr3
	v_sub_nc_u32_e32 v38, v0, v1
                                        ; implicit-def: $vgpr0
                                        ; implicit-def: $vgpr1_vgpr2
; %bb.11:
	s_wait_alu 0xfffe
	s_or_saveexec_b32 s1, s0
	s_lshl_b64 s[2:3], s[10:11], 3
	s_wait_alu 0xfffe
	s_xor_b32 exec_lo, exec_lo, s1
	s_cbranch_execz .LBB0_13
; %bb.12:
	s_add_nc_u64 s[10:11], s[12:13], s[2:3]
	v_lshlrev_b64_e32 v[1:2], 3, v[1:2]
	s_load_b64 s[10:11], s[10:11], 0x0
	s_wait_kmcnt 0x0
	v_mul_lo_u32 v6, s11, v40
	v_mul_lo_u32 v7, s10, v41
	v_mad_co_u64_u32 v[4:5], null, s10, v40, 0
	s_delay_alu instid0(VALU_DEP_1) | instskip(SKIP_1) | instid1(VALU_DEP_2)
	v_add3_u32 v5, v5, v7, v6
	v_mul_u32_u24_e32 v6, 0xbb, v3
	v_lshlrev_b64_e32 v[3:4], 3, v[4:5]
	s_delay_alu instid0(VALU_DEP_2) | instskip(NEXT) | instid1(VALU_DEP_1)
	v_sub_nc_u32_e32 v38, v0, v6
	v_lshlrev_b32_e32 v16, 3, v38
	s_delay_alu instid0(VALU_DEP_3) | instskip(SKIP_1) | instid1(VALU_DEP_4)
	v_add_co_u32 v0, s0, s4, v3
	s_wait_alu 0xf1ff
	v_add_co_ci_u32_e64 v3, s0, s5, v4, s0
	s_delay_alu instid0(VALU_DEP_2) | instskip(SKIP_1) | instid1(VALU_DEP_2)
	v_add_co_u32 v0, s0, v0, v1
	s_wait_alu 0xf1ff
	v_add_co_ci_u32_e64 v1, s0, v3, v2, s0
	s_delay_alu instid0(VALU_DEP_2) | instskip(SKIP_1) | instid1(VALU_DEP_2)
	v_add_co_u32 v0, s0, v0, v16
	s_wait_alu 0xf1ff
	v_add_co_ci_u32_e64 v1, s0, 0, v1, s0
	s_clause 0x7
	global_load_b64 v[2:3], v[0:1], off
	global_load_b64 v[4:5], v[0:1], off offset:1496
	global_load_b64 v[6:7], v[0:1], off offset:2992
	global_load_b64 v[8:9], v[0:1], off offset:4488
	global_load_b64 v[10:11], v[0:1], off offset:5984
	global_load_b64 v[12:13], v[0:1], off offset:7480
	global_load_b64 v[14:15], v[0:1], off offset:8976
	global_load_b64 v[0:1], v[0:1], off offset:10472
	v_add_nc_u32_e32 v16, 0, v16
	s_delay_alu instid0(VALU_DEP_1)
	v_add_nc_u32_e32 v17, 0xa00, v16
	v_add_nc_u32_e32 v18, 0x1600, v16
	;; [unrolled: 1-line block ×3, first 2 shown]
	s_wait_loadcnt 0x6
	ds_store_2addr_b64 v16, v[2:3], v[4:5] offset1:187
	s_wait_loadcnt 0x4
	ds_store_2addr_b64 v17, v[6:7], v[8:9] offset0:54 offset1:241
	s_wait_loadcnt 0x2
	ds_store_2addr_b64 v18, v[10:11], v[12:13] offset0:44 offset1:231
	;; [unrolled: 2-line block ×3, first 2 shown]
.LBB0_13:
	s_or_b32 exec_lo, exec_lo, s1
	v_lshl_add_u32 v48, v38, 3, 0
	global_wb scope:SCOPE_SE
	s_wait_dscnt 0x0
	s_barrier_signal -1
	s_barrier_wait -1
	global_inv scope:SCOPE_SE
	ds_load_2addr_b64 v[4:7], v48 offset1:88
	ds_load_b64 v[46:47], v48 offset:11264
	v_add_nc_u32_e32 v0, 0x400, v48
	v_add_nc_u32_e32 v1, 0x2400, v48
	;; [unrolled: 1-line block ×3, first 2 shown]
	s_add_nc_u64 s[2:3], s[14:15], s[2:3]
	s_mov_b32 s1, exec_lo
	s_wait_dscnt 0x0
	v_dual_sub_f32 v51, v6, v46 :: v_dual_sub_f32 v64, v7, v47
	v_add_f32_e32 v65, v47, v7
	ds_load_2addr_b64 v[32:35], v0 offset0:48 offset1:136
	ds_load_2addr_b64 v[8:11], v1 offset0:80 offset1:168
	v_dual_add_f32 v39, v46, v6 :: v_dual_add_nc_u32 v0, 0x800, v48
	v_add_nc_u32_e32 v12, 0x2000, v48
	v_add_nc_u32_e32 v1, 0x1000, v48
	;; [unrolled: 1-line block ×3, first 2 shown]
	v_mul_f32_e32 v44, 0xbf06c442, v64
	v_mul_f32_e32 v45, 0xbf59a7d5, v65
	;; [unrolled: 1-line block ×3, first 2 shown]
	s_wait_dscnt 0x0
	s_delay_alu instid0(VALU_DEP_1)
	v_dual_fmamk_f32 v97, v51, 0x3e3c28d5, v95 :: v_dual_add_f32 v52, v8, v34
	v_dual_add_f32 v67, v11, v33 :: v_dual_sub_f32 v66, v33, v11
	v_sub_f32_e32 v50, v32, v10
	ds_load_2addr_b64 v[28:31], v0 offset0:96 offset1:184
	ds_load_2addr_b64 v[24:27], v1 offset0:16 offset1:104
	;; [unrolled: 1-line block ×5, first 2 shown]
	v_dual_add_f32 v49, v10, v32 :: v_dual_mul_f32 v80, 0x3f65296c, v66
	v_add_f32_e32 v69, v9, v35
	v_fma_f32 v1, 0xbf59a7d5, v39, -v44
	v_dual_fmamk_f32 v2, v51, 0xbf06c442, v45 :: v_dual_sub_f32 v53, v34, v8
	v_sub_f32_e32 v68, v35, v9
	s_delay_alu instid0(VALU_DEP_3) | instskip(SKIP_3) | instid1(VALU_DEP_4)
	v_dual_mul_f32 v0, 0xbe3c28d5, v64 :: v_dual_add_f32 v1, v4, v1
	v_fma_f32 v3, 0x3ee437d1, v49, -v80
	v_mul_f32_e32 v82, 0x3ee437d1, v67
	v_mul_f32_e32 v84, 0x3dbcf732, v69
	v_fmamk_f32 v43, v39, 0xbf7ba420, v0
	s_delay_alu instid0(VALU_DEP_4) | instskip(NEXT) | instid1(VALU_DEP_4)
	v_dual_mul_f32 v94, 0x3eb8f4ab, v66 :: v_dual_add_f32 v1, v3, v1
	v_fmamk_f32 v42, v50, 0x3f65296c, v82
	s_wait_dscnt 0x2
	v_dual_mul_f32 v98, 0x3f6eb680, v67 :: v_dual_add_f32 v79, v23, v21
	s_wait_dscnt 0x1
	v_add_f32_e32 v75, v19, v25
	s_wait_dscnt 0x0
	v_sub_f32_e32 v55, v28, v14
	v_dual_add_f32 v2, v5, v2 :: v_dual_mul_f32 v81, 0xbf7ee86f, v68
	v_add_f32_e32 v71, v15, v29
	v_dual_sub_f32 v72, v31, v13 :: v_dual_sub_f32 v57, v30, v12
	s_delay_alu instid0(VALU_DEP_3) | instskip(NEXT) | instid1(VALU_DEP_4)
	v_add_f32_e32 v2, v42, v2
	v_fma_f32 v3, 0x3dbcf732, v52, -v81
	s_delay_alu instid0(VALU_DEP_4) | instskip(SKIP_4) | instid1(VALU_DEP_4)
	v_mul_f32_e32 v85, 0xbf1a4643, v71
	v_sub_f32_e32 v70, v29, v15
	v_dual_add_f32 v73, v13, v31 :: v_dual_mul_f32 v86, 0xbeb8f4ab, v72
	v_add_f32_e32 v77, v17, v27
	v_dual_add_f32 v1, v3, v1 :: v_dual_add_f32 v54, v14, v28
	v_mul_f32_e32 v83, 0x3f4c4adb, v70
	s_delay_alu instid0(VALU_DEP_4) | instskip(SKIP_2) | instid1(VALU_DEP_4)
	v_dual_mul_f32 v88, 0x3f6eb680, v73 :: v_dual_sub_f32 v61, v26, v16
	v_dual_sub_f32 v59, v24, v18 :: v_dual_mul_f32 v90, 0xbf7ba420, v75
	v_sub_f32_e32 v63, v20, v22
	v_fma_f32 v3, 0xbf1a4643, v54, -v83
	v_fmamk_f32 v42, v53, 0xbf7ee86f, v84
	v_dual_sub_f32 v76, v27, v17 :: v_dual_mul_f32 v93, 0xbe8c1d8e, v79
	s_delay_alu instid0(VALU_DEP_3) | instskip(NEXT) | instid1(VALU_DEP_3)
	v_dual_add_f32 v60, v16, v26 :: v_dual_add_f32 v1, v3, v1
	v_add_f32_e32 v2, v42, v2
	v_fmamk_f32 v42, v55, 0x3f4c4adb, v85
	s_delay_alu instid0(VALU_DEP_4) | instskip(SKIP_1) | instid1(VALU_DEP_3)
	v_dual_add_f32 v56, v12, v30 :: v_dual_mul_f32 v89, 0x3f2c7751, v76
	v_mul_f32_e32 v91, 0x3f3d2fb0, v77
	v_dual_add_f32 v43, v4, v43 :: v_dual_add_f32 v2, v42, v2
	s_delay_alu instid0(VALU_DEP_3) | instskip(SKIP_3) | instid1(VALU_DEP_4)
	v_fma_f32 v3, 0x3f6eb680, v56, -v86
	v_fmamk_f32 v42, v57, 0xbeb8f4ab, v88
	v_sub_f32_e32 v78, v21, v23
	v_fmamk_f32 v96, v49, 0x3f6eb680, v94
	v_dual_add_f32 v62, v22, v20 :: v_dual_add_f32 v1, v3, v1
	v_sub_f32_e32 v74, v25, v19
	v_add_f32_e32 v2, v42, v2
	v_fmamk_f32 v42, v59, 0xbe3c28d5, v90
	v_add_f32_e32 v58, v18, v24
	v_fma_f32 v0, 0xbf7ba420, v39, -v0
	v_mul_f32_e32 v87, 0xbe3c28d5, v74
	global_wb scope:SCOPE_SE
	v_add_f32_e32 v2, v42, v2
	v_mul_f32_e32 v100, 0xbf59a7d5, v69
	s_barrier_signal -1
	v_fma_f32 v3, 0xbf7ba420, v58, -v87
	s_barrier_wait -1
	global_inv scope:SCOPE_SE
	v_dual_add_f32 v0, v4, v0 :: v_dual_add_f32 v1, v3, v1
	v_fma_f32 v3, 0x3f3d2fb0, v60, -v89
	s_delay_alu instid0(VALU_DEP_1)
	v_dual_fmamk_f32 v42, v61, 0x3f2c7751, v91 :: v_dual_add_f32 v1, v3, v1
	v_add_f32_e32 v3, v96, v43
	v_add_f32_e32 v43, v5, v97
	v_fma_f32 v94, 0x3f6eb680, v49, -v94
	v_fmac_f32_e32 v95, 0xbe3c28d5, v51
	v_dual_mul_f32 v99, 0xbf06c442, v68 :: v_dual_add_f32 v2, v42, v2
	s_delay_alu instid0(VALU_DEP_2) | instskip(SKIP_1) | instid1(VALU_DEP_3)
	v_dual_add_f32 v0, v94, v0 :: v_dual_add_f32 v95, v5, v95
	v_mul_f32_e32 v103, 0xbf4c4adb, v72
	v_fmamk_f32 v97, v52, 0xbf59a7d5, v99
	v_mul_f32_e32 v92, 0xbf763a35, v78
	s_delay_alu instid0(VALU_DEP_3)
	v_dual_mul_f32 v104, 0xbf1a4643, v73 :: v_dual_fmamk_f32 v105, v56, 0xbf1a4643, v103
	v_fmamk_f32 v96, v50, 0xbeb8f4ab, v98
	v_mul_f32_e32 v101, 0x3f2c7751, v70
	v_add_f32_e32 v3, v97, v3
	v_mul_f32_e32 v97, 0x3f3d2fb0, v71
	v_fma_f32 v102, 0xbe8c1d8e, v62, -v92
	v_dual_add_f32 v42, v96, v43 :: v_dual_fmamk_f32 v43, v53, 0x3f06c442, v100
	s_delay_alu instid0(VALU_DEP_1) | instskip(NEXT) | instid1(VALU_DEP_1)
	v_dual_fmamk_f32 v96, v54, 0x3f3d2fb0, v101 :: v_dual_add_f32 v43, v43, v42
	v_dual_add_f32 v3, v96, v3 :: v_dual_fmamk_f32 v96, v55, 0xbf2c7751, v97
	v_fmamk_f32 v106, v63, 0xbf763a35, v93
	v_dual_add_f32 v42, v102, v1 :: v_dual_fmac_f32 v97, 0x3f2c7751, v55
	s_delay_alu instid0(VALU_DEP_3) | instskip(NEXT) | instid1(VALU_DEP_4)
	v_add_f32_e32 v3, v105, v3
	v_add_f32_e32 v1, v96, v43
	v_fmamk_f32 v43, v57, 0x3f4c4adb, v104
	v_mul_f32_e32 v96, 0x3f65296c, v74
	s_delay_alu instid0(VALU_DEP_2) | instskip(NEXT) | instid1(VALU_DEP_2)
	v_dual_mul_f32 v102, 0x3ee437d1, v75 :: v_dual_add_f32 v1, v43, v1
	v_fmamk_f32 v43, v58, 0x3ee437d1, v96
	s_delay_alu instid0(VALU_DEP_1) | instskip(NEXT) | instid1(VALU_DEP_1)
	v_dual_fmac_f32 v98, 0x3eb8f4ab, v50 :: v_dual_add_f32 v3, v43, v3
	v_dual_add_f32 v94, v98, v95 :: v_dual_mul_f32 v95, 0xbf763a35, v76
	v_fma_f32 v43, 0xbf59a7d5, v52, -v99
	s_delay_alu instid0(VALU_DEP_2) | instskip(SKIP_1) | instid1(VALU_DEP_3)
	v_dual_mul_f32 v98, 0xbe8c1d8e, v77 :: v_dual_fmamk_f32 v99, v60, 0xbe8c1d8e, v95
	v_fmac_f32_e32 v100, 0xbf06c442, v53
	v_add_f32_e32 v0, v43, v0
	v_fma_f32 v43, 0x3f3d2fb0, v54, -v101
	s_delay_alu instid0(VALU_DEP_4) | instskip(NEXT) | instid1(VALU_DEP_4)
	v_add_f32_e32 v3, v99, v3
	v_dual_fmamk_f32 v105, v59, 0xbf65296c, v102 :: v_dual_add_f32 v94, v100, v94
	v_fmamk_f32 v100, v61, 0x3f763a35, v98
	s_delay_alu instid0(VALU_DEP_4) | instskip(SKIP_1) | instid1(VALU_DEP_4)
	v_add_f32_e32 v0, v43, v0
	v_fma_f32 v43, 0xbf1a4643, v56, -v103
	v_add_f32_e32 v1, v105, v1
	v_add_f32_e32 v94, v97, v94
	v_fmac_f32_e32 v98, 0xbf763a35, v61
	s_delay_alu instid0(VALU_DEP_3) | instskip(SKIP_1) | instid1(VALU_DEP_1)
	v_dual_add_f32 v0, v43, v0 :: v_dual_add_f32 v1, v100, v1
	v_fma_f32 v43, 0x3ee437d1, v58, -v96
	v_dual_mul_f32 v97, 0x3dbcf732, v79 :: v_dual_add_f32 v0, v43, v0
	v_mul_f32_e32 v96, 0x3f7ee86f, v78
	s_delay_alu instid0(VALU_DEP_2)
	v_fmamk_f32 v99, v63, 0xbf7ee86f, v97
	v_fmac_f32_e32 v97, 0x3f7ee86f, v63
	v_fmac_f32_e32 v104, 0xbf4c4adb, v57
	;; [unrolled: 1-line block ×3, first 2 shown]
	v_fma_f32 v43, 0xbe8c1d8e, v60, -v95
	v_add_f32_e32 v1, v99, v1
	s_delay_alu instid0(VALU_DEP_4) | instskip(SKIP_1) | instid1(VALU_DEP_4)
	v_dual_fmamk_f32 v95, v62, 0x3dbcf732, v96 :: v_dual_add_f32 v94, v104, v94
	v_fma_f32 v96, 0x3dbcf732, v62, -v96
	v_dual_add_f32 v100, v43, v0 :: v_dual_add_f32 v43, v106, v2
	s_delay_alu instid0(VALU_DEP_3) | instskip(NEXT) | instid1(VALU_DEP_4)
	v_add_f32_e32 v0, v95, v3
	v_add_f32_e32 v94, v102, v94
	s_delay_alu instid0(VALU_DEP_3) | instskip(NEXT) | instid1(VALU_DEP_2)
	v_add_f32_e32 v2, v96, v100
	v_add_f32_e32 v94, v98, v94
	s_delay_alu instid0(VALU_DEP_1)
	v_add_f32_e32 v3, v97, v94
	v_cmpx_gt_u32_e32 0x58, v38
	s_cbranch_execz .LBB0_15
; %bb.14:
	v_mul_f32_e32 v94, 0xbf06c442, v51
	v_mul_f32_e32 v96, 0x3ee437d1, v49
	;; [unrolled: 1-line block ×4, first 2 shown]
	s_delay_alu instid0(VALU_DEP_4) | instskip(NEXT) | instid1(VALU_DEP_4)
	v_dual_mul_f32 v110, 0x3f6eb680, v77 :: v_dual_sub_f32 v45, v45, v94
	v_dual_mul_f32 v99, 0xbf1a4643, v54 :: v_dual_add_f32 v80, v96, v80
	s_delay_alu instid0(VALU_DEP_4) | instskip(NEXT) | instid1(VALU_DEP_3)
	v_sub_f32_e32 v82, v82, v97
	v_dual_add_f32 v44, v95, v44 :: v_dual_add_f32 v45, v5, v45
	v_mul_f32_e32 v98, 0x3dbcf732, v52
	v_mul_f32_e32 v101, 0xbeb8f4ab, v57
	s_delay_alu instid0(VALU_DEP_3) | instskip(NEXT) | instid1(VALU_DEP_4)
	v_dual_add_f32 v83, v99, v83 :: v_dual_add_f32 v44, v4, v44
	v_dual_add_f32 v45, v82, v45 :: v_dual_mul_f32 v100, 0x3f4c4adb, v55
	v_mul_f32_e32 v94, 0xbf7ee86f, v53
	v_dual_mul_f32 v82, 0xbf7ba420, v58 :: v_dual_add_f32 v81, v98, v81
	s_delay_alu instid0(VALU_DEP_3) | instskip(NEXT) | instid1(VALU_DEP_3)
	v_dual_sub_f32 v88, v88, v101 :: v_dual_sub_f32 v85, v85, v100
	v_dual_mul_f32 v97, 0x3f6eb680, v56 :: v_dual_sub_f32 v84, v84, v94
	v_add_f32_e32 v44, v80, v44
	v_dual_mul_f32 v94, 0xbeb8f4ab, v68 :: v_dual_add_f32 v7, v5, v7
	s_delay_alu instid0(VALU_DEP_3)
	v_dual_add_f32 v86, v97, v86 :: v_dual_add_f32 v45, v84, v45
	v_mul_f32_e32 v84, 0xbe3c28d5, v59
	v_fmamk_f32 v113, v61, 0x3eb8f4ab, v110
	v_mul_f32_e32 v115, 0xbf65296c, v64
	v_mul_f32_e32 v117, 0xbf7ba420, v69
	v_dual_add_f32 v45, v85, v45 :: v_dual_mul_f32 v80, 0x3f3d2fb0, v60
	v_mul_f32_e32 v125, 0x3dbcf732, v77
	v_mul_f32_e32 v132, 0xbf7ee86f, v66
	s_delay_alu instid0(VALU_DEP_3) | instskip(SKIP_3) | instid1(VALU_DEP_3)
	v_dual_mul_f32 v120, 0x3f763a35, v70 :: v_dual_add_f32 v45, v88, v45
	v_dual_add_f32 v44, v81, v44 :: v_dual_mul_f32 v81, 0x3f2c7751, v61
	v_dual_sub_f32 v84, v90, v84 :: v_dual_mul_f32 v85, 0xbf1a4643, v65
	v_dual_add_f32 v82, v82, v87 :: v_dual_mul_f32 v129, 0x3f3d2fb0, v65
	v_sub_f32_e32 v81, v91, v81
	s_delay_alu instid0(VALU_DEP_3) | instskip(SKIP_2) | instid1(VALU_DEP_3)
	v_dual_add_f32 v45, v84, v45 :: v_dual_add_f32 v44, v83, v44
	v_mul_f32_e32 v83, 0xbf763a35, v63
	v_mul_f32_e32 v88, 0xbe8c1d8e, v62
	v_dual_mul_f32 v124, 0xbeb8f4ab, v74 :: v_dual_add_f32 v45, v81, v45
	s_delay_alu instid0(VALU_DEP_3) | instskip(SKIP_3) | instid1(VALU_DEP_4)
	v_dual_add_f32 v44, v86, v44 :: v_dual_sub_f32 v81, v93, v83
	v_fmamk_f32 v83, v51, 0x3f4c4adb, v85
	v_mul_f32_e32 v86, 0xbe8c1d8e, v67
	v_mul_f32_e32 v126, 0xbf7ee86f, v76
	v_dual_add_f32 v44, v82, v44 :: v_dual_add_f32 v45, v81, v45
	s_delay_alu instid0(VALU_DEP_4) | instskip(NEXT) | instid1(VALU_DEP_4)
	v_dual_add_f32 v81, v5, v83 :: v_dual_add_f32 v82, v80, v89
	v_fmamk_f32 v83, v50, 0xbf763a35, v86
	v_mul_f32_e32 v128, 0xbf06c442, v78
	v_mul_f32_e32 v133, 0xbf1a4643, v69
	s_delay_alu instid0(VALU_DEP_4) | instskip(NEXT) | instid1(VALU_DEP_4)
	v_dual_mul_f32 v135, 0xbf7ba420, v71 :: v_dual_add_f32 v44, v82, v44
	v_add_f32_e32 v83, v83, v81
	v_mul_f32_e32 v80, 0x3f6eb680, v69
	v_dual_add_f32 v82, v88, v92 :: v_dual_mul_f32 v81, 0xbf59a7d5, v71
	v_fmamk_f32 v92, v52, 0x3f6eb680, v94
	v_mul_f32_e32 v137, 0xbf59a7d5, v73
	s_delay_alu instid0(VALU_DEP_4) | instskip(SKIP_3) | instid1(VALU_DEP_4)
	v_fmamk_f32 v84, v53, 0x3eb8f4ab, v80
	v_mul_f32_e32 v139, 0xbe8c1d8e, v75
	v_mul_f32_e32 v141, 0x3ee437d1, v77
	;; [unrolled: 1-line block ×3, first 2 shown]
	v_dual_mul_f32 v136, 0xbe3c28d5, v70 :: v_dual_add_f32 v83, v84, v83
	v_fmamk_f32 v84, v55, 0x3f06c442, v81
	v_mul_f32_e32 v89, 0xbf4c4adb, v64
	v_dual_add_f32 v7, v7, v33 :: v_dual_add_f32 v6, v4, v6
	s_delay_alu instid0(VALU_DEP_3) | instskip(NEXT) | instid1(VALU_DEP_3)
	v_dual_mul_f32 v109, 0x3f65296c, v78 :: v_dual_add_f32 v84, v84, v83
	v_dual_add_f32 v44, v82, v44 :: v_dual_fmamk_f32 v87, v39, 0xbf1a4643, v89
	s_delay_alu instid0(VALU_DEP_3) | instskip(SKIP_1) | instid1(VALU_DEP_3)
	v_dual_add_f32 v6, v6, v32 :: v_dual_add_f32 v35, v7, v35
	v_mul_f32_e32 v121, 0x3f3d2fb0, v73
	v_dual_mul_f32 v118, 0x3e3c28d5, v68 :: v_dual_add_f32 v87, v4, v87
	v_mul_f32_e32 v91, 0x3f763a35, v66
	s_delay_alu instid0(VALU_DEP_4)
	v_add_f32_e32 v29, v35, v29
	v_fmac_f32_e32 v81, 0xbf06c442, v55
	v_mul_f32_e32 v123, 0x3f6eb680, v75
	v_mul_f32_e32 v127, 0xbf59a7d5, v79
	v_fmamk_f32 v88, v49, 0xbe8c1d8e, v91
	v_add_f32_e32 v31, v29, v31
	v_fmac_f32_e32 v85, 0xbf4c4adb, v51
	s_delay_alu instid0(VALU_DEP_3) | instskip(NEXT) | instid1(VALU_DEP_1)
	v_dual_add_f32 v88, v88, v87 :: v_dual_mul_f32 v87, 0xbf06c442, v70
	v_dual_add_f32 v25, v31, v25 :: v_dual_add_f32 v92, v92, v88
	s_delay_alu instid0(VALU_DEP_2) | instskip(SKIP_1) | instid1(VALU_DEP_3)
	v_fmamk_f32 v95, v54, 0xbf59a7d5, v87
	v_mul_f32_e32 v88, 0x3f7ee86f, v72
	v_dual_mul_f32 v82, 0x3dbcf732, v73 :: v_dual_add_f32 v25, v25, v27
	s_delay_alu instid0(VALU_DEP_2) | instskip(NEXT) | instid1(VALU_DEP_2)
	v_dual_add_f32 v95, v95, v92 :: v_dual_fmamk_f32 v98, v56, 0x3dbcf732, v88
	v_fmamk_f32 v90, v57, 0xbf7ee86f, v82
	v_mul_f32_e32 v83, 0x3f3d2fb0, v75
	s_delay_alu instid0(VALU_DEP_4) | instskip(NEXT) | instid1(VALU_DEP_4)
	v_add_f32_e32 v21, v25, v21
	v_dual_fmac_f32 v82, 0x3f7ee86f, v57 :: v_dual_add_f32 v95, v98, v95
	s_delay_alu instid0(VALU_DEP_4)
	v_add_f32_e32 v90, v90, v84
	v_mul_f32_e32 v98, 0x3f3d2fb0, v69
	v_mul_f32_e32 v92, 0xbf2c7751, v74
	v_fmamk_f32 v93, v59, 0x3f2c7751, v83
	v_dual_mul_f32 v84, 0xbf7ba420, v77 :: v_dual_add_f32 v21, v21, v23
	v_fmac_f32_e32 v83, 0xbf2c7751, v59
	s_delay_alu instid0(VALU_DEP_3) | instskip(NEXT) | instid1(VALU_DEP_1)
	v_dual_fmamk_f32 v99, v58, 0x3f3d2fb0, v92 :: v_dual_add_f32 v90, v93, v90
	v_dual_add_f32 v17, v21, v17 :: v_dual_add_f32 v102, v99, v95
	v_mul_f32_e32 v95, 0xbf763a35, v64
	v_mul_f32_e32 v99, 0x3ee437d1, v71
	s_delay_alu instid0(VALU_DEP_3) | instskip(NEXT) | instid1(VALU_DEP_3)
	v_dual_mul_f32 v96, 0xbe8c1d8e, v65 :: v_dual_add_f32 v19, v17, v19
	v_fmamk_f32 v107, v39, 0xbe8c1d8e, v95
	s_delay_alu instid0(VALU_DEP_3) | instskip(SKIP_1) | instid1(VALU_DEP_4)
	v_fmamk_f32 v106, v55, 0x3f65296c, v99
	v_fmac_f32_e32 v99, 0xbf65296c, v55
	v_add_f32_e32 v13, v19, v13
	s_delay_alu instid0(VALU_DEP_4) | instskip(SKIP_2) | instid1(VALU_DEP_4)
	v_dual_fmamk_f32 v19, v49, 0x3dbcf732, v132 :: v_dual_add_f32 v32, v4, v107
	v_add_f32_e32 v107, v6, v34
	v_fmamk_f32 v93, v61, 0x3e3c28d5, v84
	v_dual_mul_f32 v34, 0x3f2c7751, v68 :: v_dual_add_f32 v13, v13, v15
	s_delay_alu instid0(VALU_DEP_3) | instskip(NEXT) | instid1(VALU_DEP_3)
	v_add_f32_e32 v35, v107, v28
	v_dual_add_f32 v103, v93, v90 :: v_dual_fmamk_f32 v90, v51, 0x3f763a35, v96
	v_mul_f32_e32 v93, 0xbe3c28d5, v76
	v_mul_f32_e32 v28, 0x3f7ee86f, v74
	s_delay_alu instid0(VALU_DEP_4) | instskip(NEXT) | instid1(VALU_DEP_4)
	v_dual_add_f32 v30, v35, v30 :: v_dual_mul_f32 v107, 0xbf7ba420, v67
	v_dual_add_f32 v100, v5, v90 :: v_dual_mul_f32 v97, 0xbf59a7d5, v67
	s_delay_alu instid0(VALU_DEP_4) | instskip(SKIP_3) | instid1(VALU_DEP_4)
	v_fmamk_f32 v104, v60, 0xbf7ba420, v93
	v_mul_f32_e32 v90, 0x3ee437d1, v79
	v_fmamk_f32 v35, v58, 0x3dbcf732, v28
	v_add_f32_e32 v30, v30, v24
	v_dual_fmamk_f32 v101, v50, 0xbf06c442, v97 :: v_dual_add_f32 v104, v104, v102
	v_mul_f32_e32 v29, 0xbeb8f4ab, v76
	v_fmac_f32_e32 v84, 0xbe3c28d5, v61
	s_delay_alu instid0(VALU_DEP_4) | instskip(NEXT) | instid1(VALU_DEP_4)
	v_add_f32_e32 v26, v30, v26
	v_add_f32_e32 v100, v101, v100
	v_fmamk_f32 v101, v53, 0xbf2c7751, v98
	v_fmamk_f32 v30, v60, 0x3f6eb680, v29
	s_delay_alu instid0(VALU_DEP_4) | instskip(NEXT) | instid1(VALU_DEP_3)
	v_dual_fmac_f32 v97, 0x3f06c442, v50 :: v_dual_add_f32 v20, v26, v20
	v_dual_fmamk_f32 v27, v50, 0x3e3c28d5, v107 :: v_dual_add_f32 v102, v101, v100
	v_mul_f32_e32 v100, 0xbf7ba420, v73
	v_fmac_f32_e32 v107, 0xbe3c28d5, v50
	s_delay_alu instid0(VALU_DEP_4)
	v_add_f32_e32 v20, v20, v22
	v_fmac_f32_e32 v80, 0xbeb8f4ab, v53
	v_add_f32_e32 v106, v106, v102
	v_fmamk_f32 v108, v57, 0x3e3c28d5, v100
	v_mul_f32_e32 v102, 0x3dbcf732, v75
	v_add_f32_e32 v16, v20, v16
	s_delay_alu instid0(VALU_DEP_3)
	v_add_f32_e32 v6, v108, v106
	v_fmamk_f32 v106, v52, 0x3f3d2fb0, v34
	v_mul_f32_e32 v101, 0x3f06c442, v66
	v_fmamk_f32 v7, v59, 0xbf7ee86f, v102
	v_fmamk_f32 v108, v62, 0x3ee437d1, v109
	v_fma_f32 v34, 0x3f3d2fb0, v52, -v34
	s_delay_alu instid0(VALU_DEP_4) | instskip(SKIP_1) | instid1(VALU_DEP_4)
	v_fmamk_f32 v33, v49, 0xbf59a7d5, v101
	v_fmamk_f32 v105, v63, 0xbf65296c, v90
	v_dual_add_f32 v111, v7, v6 :: v_dual_add_f32 v6, v108, v104
	v_fmac_f32_e32 v90, 0x3f65296c, v63
	s_delay_alu instid0(VALU_DEP_4) | instskip(NEXT) | instid1(VALU_DEP_4)
	v_dual_add_f32 v32, v33, v32 :: v_dual_mul_f32 v33, 0xbf65296c, v70
	v_add_f32_e32 v7, v105, v103
	s_delay_alu instid0(VALU_DEP_2) | instskip(NEXT) | instid1(VALU_DEP_3)
	v_dual_add_f32 v105, v113, v111 :: v_dual_add_f32 v106, v106, v32
	v_fmamk_f32 v112, v54, 0x3ee437d1, v33
	v_mul_f32_e32 v32, 0xbe3c28d5, v72
	v_fma_f32 v33, 0x3ee437d1, v54, -v33
	s_delay_alu instid0(VALU_DEP_3) | instskip(NEXT) | instid1(VALU_DEP_3)
	v_dual_fmac_f32 v96, 0xbf763a35, v51 :: v_dual_add_f32 v103, v112, v106
	v_fmamk_f32 v104, v56, 0xbf7ba420, v32
	v_mul_f32_e32 v106, 0x3dbcf732, v65
	s_delay_alu instid0(VALU_DEP_2) | instskip(NEXT) | instid1(VALU_DEP_2)
	v_dual_mul_f32 v112, 0x3eb8f4ab, v70 :: v_dual_add_f32 v103, v104, v103
	v_fmamk_f32 v104, v51, 0x3f7ee86f, v106
	s_delay_alu instid0(VALU_DEP_2) | instskip(NEXT) | instid1(VALU_DEP_2)
	v_dual_fmac_f32 v100, 0xbe3c28d5, v57 :: v_dual_add_f32 v31, v35, v103
	v_add_f32_e32 v35, v5, v104
	s_delay_alu instid0(VALU_DEP_2) | instskip(NEXT) | instid1(VALU_DEP_2)
	v_dual_mul_f32 v103, 0xbe8c1d8e, v69 :: v_dual_add_f32 v30, v30, v31
	v_add_f32_e32 v25, v27, v35
	s_delay_alu instid0(VALU_DEP_2) | instskip(SKIP_2) | instid1(VALU_DEP_3)
	v_fmamk_f32 v27, v53, 0xbf763a35, v103
	v_dual_mul_f32 v35, 0x3ee437d1, v73 :: v_dual_add_f32 v18, v16, v18
	v_dual_fmac_f32 v86, 0x3f763a35, v50 :: v_dual_fmac_f32 v103, 0x3f763a35, v53
	v_add_f32_e32 v25, v27, v25
	v_mul_f32_e32 v27, 0xbf7ee86f, v64
	s_delay_alu instid0(VALU_DEP_4) | instskip(SKIP_2) | instid1(VALU_DEP_4)
	v_add_f32_e32 v12, v18, v12
	v_fma_f32 v32, 0xbf7ba420, v56, -v32
	v_fma_f32 v28, 0x3dbcf732, v58, -v28
	v_fmamk_f32 v21, v39, 0x3dbcf732, v27
	v_mul_f32_e32 v22, 0x3f6eb680, v71
	v_add_f32_e32 v12, v12, v14
	s_delay_alu instid0(VALU_DEP_2) | instskip(SKIP_1) | instid1(VALU_DEP_3)
	v_dual_add_f32 v21, v4, v21 :: v_dual_fmamk_f32 v20, v55, 0xbeb8f4ab, v22
	v_mul_f32_e32 v26, 0xbf4c4adb, v78
	v_dual_add_f32 v8, v12, v8 :: v_dual_add_f32 v9, v13, v9
	s_delay_alu instid0(VALU_DEP_3) | instskip(NEXT) | instid1(VALU_DEP_3)
	v_dual_add_f32 v17, v20, v25 :: v_dual_mul_f32 v24, 0xbf1a4643, v79
	v_fmamk_f32 v31, v62, 0xbf1a4643, v26
	v_fmamk_f32 v20, v57, 0x3f65296c, v35
	s_delay_alu instid0(VALU_DEP_4) | instskip(NEXT) | instid1(VALU_DEP_4)
	v_dual_add_f32 v8, v8, v10 :: v_dual_add_f32 v9, v9, v11
	v_fmamk_f32 v23, v63, 0x3f4c4adb, v24
	v_mul_f32_e32 v104, 0xbe3c28d5, v66
	s_delay_alu instid0(VALU_DEP_4) | instskip(SKIP_1) | instid1(VALU_DEP_4)
	v_add_f32_e32 v20, v20, v17
	v_dual_add_f32 v16, v31, v30 :: v_dual_mul_f32 v111, 0xbf59a7d5, v75
	v_add_f32_e32 v17, v23, v105
	s_delay_alu instid0(VALU_DEP_4)
	v_fmamk_f32 v25, v49, 0xbf7ba420, v104
	v_fmamk_f32 v23, v54, 0x3f6eb680, v112
	v_mul_f32_e32 v31, 0x3ee437d1, v65
	v_fmamk_f32 v113, v59, 0x3f06c442, v111
	v_mul_f32_e32 v30, 0xbf1a4643, v77
	v_dual_add_f32 v21, v25, v21 :: v_dual_mul_f32 v108, 0x3f763a35, v68
	s_delay_alu instid0(VALU_DEP_4) | instskip(NEXT) | instid1(VALU_DEP_4)
	v_dual_fmamk_f32 v13, v51, 0x3f65296c, v31 :: v_dual_add_f32 v8, v8, v46
	v_dual_mul_f32 v105, 0xbf06c442, v74 :: v_dual_add_f32 v20, v113, v20
	s_delay_alu instid0(VALU_DEP_2) | instskip(SKIP_2) | instid1(VALU_DEP_3)
	v_dual_fmamk_f32 v25, v52, 0xbe8c1d8e, v108 :: v_dual_add_f32 v10, v5, v13
	v_dual_mul_f32 v114, 0x3f4c4adb, v76 :: v_dual_add_f32 v9, v9, v47
	v_mul_f32_e32 v113, 0xbf1a4643, v67
	v_add_f32_e32 v21, v25, v21
	v_mul_f32_e32 v25, 0xbf65296c, v72
	v_mul_f32_e32 v68, 0xbf65296c, v68
	;; [unrolled: 1-line block ×4, first 2 shown]
	v_add_f32_e32 v18, v23, v21
	v_fmamk_f32 v14, v56, 0x3ee437d1, v25
	v_fmamk_f32 v15, v61, 0xbf4c4adb, v30
	;; [unrolled: 1-line block ×3, first 2 shown]
	v_fma_f32 v21, 0xbf1a4643, v39, -v89
	v_fma_f32 v23, 0xbe8c1d8e, v49, -v91
	v_add_f32_e32 v12, v14, v18
	v_add_f32_e32 v14, v15, v20
	s_delay_alu instid0(VALU_DEP_4) | instskip(SKIP_1) | instid1(VALU_DEP_4)
	v_dual_mul_f32 v46, 0x3f3d2fb0, v79 :: v_dual_add_f32 v21, v4, v21
	v_mul_f32_e32 v76, 0xbf06c442, v76
	v_dual_add_f32 v11, v11, v12 :: v_dual_fmamk_f32 v12, v60, 0xbf1a4643, v114
	v_fmamk_f32 v13, v50, 0x3f4c4adb, v113
	s_delay_alu instid0(VALU_DEP_4) | instskip(SKIP_1) | instid1(VALU_DEP_4)
	v_add_f32_e32 v21, v23, v21
	v_fma_f32 v23, 0x3f6eb680, v52, -v94
	v_dual_mul_f32 v77, 0xbf59a7d5, v77 :: v_dual_add_f32 v12, v12, v11
	s_delay_alu instid0(VALU_DEP_4) | instskip(SKIP_4) | instid1(VALU_DEP_4)
	v_dual_add_f32 v13, v13, v10 :: v_dual_fmamk_f32 v10, v63, 0xbf2c7751, v46
	v_fmamk_f32 v15, v39, 0x3ee437d1, v115
	v_mul_f32_e32 v47, 0x3f2c7751, v78
	v_add_f32_e32 v21, v23, v21
	v_fma_f32 v23, 0xbf59a7d5, v54, -v87
	v_dual_add_f32 v11, v10, v14 :: v_dual_add_f32 v14, v4, v15
	s_delay_alu instid0(VALU_DEP_4) | instskip(NEXT) | instid1(VALU_DEP_3)
	v_fmamk_f32 v18, v62, 0x3f3d2fb0, v47
	v_dual_mul_f32 v144, 0x3eb8f4ab, v78 :: v_dual_add_f32 v21, v23, v21
	v_mul_f32_e32 v143, 0x3f6eb680, v79
	v_fma_f32 v23, 0x3dbcf732, v56, -v88
	s_delay_alu instid0(VALU_DEP_4) | instskip(SKIP_4) | instid1(VALU_DEP_3)
	v_add_f32_e32 v10, v18, v12
	v_fmamk_f32 v12, v53, 0xbe3c28d5, v117
	v_mul_f32_e32 v119, 0xbe8c1d8e, v71
	v_fmamk_f32 v18, v51, 0x3f2c7751, v129
	v_dual_mul_f32 v122, 0x3f2c7751, v72 :: v_dual_add_f32 v21, v23, v21
	v_dual_add_f32 v12, v12, v13 :: v_dual_fmamk_f32 v13, v55, 0xbf763a35, v119
	v_fma_f32 v23, 0x3f3d2fb0, v58, -v92
	v_fmac_f32_e32 v46, 0x3f2c7751, v63
	v_fmac_f32_e32 v102, 0x3f7ee86f, v59
	v_mul_f32_e32 v70, 0xbf7ee86f, v70
	v_add_f32_e32 v12, v13, v12
	v_fmamk_f32 v13, v57, 0xbf2c7751, v121
	v_add_f32_e32 v21, v23, v21
	v_fma_f32 v23, 0xbf7ba420, v60, -v93
	v_mul_f32_e32 v138, 0x3f06c442, v72
	v_mul_f32_e32 v72, 0xbf763a35, v72
	v_dual_add_f32 v12, v13, v12 :: v_dual_fmamk_f32 v13, v59, 0x3eb8f4ab, v123
	s_delay_alu instid0(VALU_DEP_4)
	v_add_f32_e32 v23, v23, v21
	v_mul_f32_e32 v73, 0xbe8c1d8e, v73
	v_mul_f32_e32 v140, 0x3f763a35, v74
	;; [unrolled: 1-line block ×3, first 2 shown]
	v_add_f32_e32 v12, v13, v12
	v_fmamk_f32 v13, v61, 0x3f7ee86f, v125
	v_mul_f32_e32 v65, 0x3f6eb680, v65
	v_fmac_f32_e32 v24, 0xbf4c4adb, v63
	v_fmac_f32_e32 v110, 0xbeb8f4ab, v61
	s_delay_alu instid0(VALU_DEP_4)
	v_dual_mul_f32 v71, 0x3dbcf732, v71 :: v_dual_add_f32 v12, v13, v12
	v_fmamk_f32 v13, v63, 0x3f06c442, v127
	v_mul_f32_e32 v116, 0xbf4c4adb, v66
	v_mul_f32_e32 v66, 0xbf2c7751, v66
	;; [unrolled: 1-line block ×3, first 2 shown]
	v_fma_f32 v27, 0x3dbcf732, v39, -v27
	v_add_f32_e32 v13, v13, v12
	v_fmamk_f32 v15, v49, 0xbf1a4643, v116
	v_fmamk_f32 v20, v49, 0x3f3d2fb0, v66
	s_delay_alu instid0(VALU_DEP_4) | instskip(SKIP_1) | instid1(VALU_DEP_4)
	v_dual_mul_f32 v78, 0xbe3c28d5, v78 :: v_dual_add_f32 v27, v4, v27
	v_fmac_f32_e32 v98, 0x3f2c7751, v53
	v_dual_add_f32 v14, v15, v14 :: v_dual_fmamk_f32 v15, v52, 0xbf7ba420, v118
	v_mul_f32_e32 v79, 0xbf7ba420, v79
	v_fma_f32 v25, 0x3ee437d1, v56, -v25
	v_fma_f32 v26, 0xbf1a4643, v62, -v26
	s_delay_alu instid0(VALU_DEP_4) | instskip(SKIP_4) | instid1(VALU_DEP_4)
	v_dual_fmac_f32 v35, 0xbf65296c, v57 :: v_dual_add_f32 v14, v15, v14
	v_fmamk_f32 v15, v54, 0xbe8c1d8e, v120
	v_fmac_f32_e32 v113, 0xbf4c4adb, v50
	v_fmac_f32_e32 v111, 0xbf06c442, v59
	;; [unrolled: 1-line block ×3, first 2 shown]
	v_dual_fmac_f32 v117, 0x3e3c28d5, v53 :: v_dual_add_f32 v14, v15, v14
	v_fmamk_f32 v15, v56, 0x3f3d2fb0, v122
	v_fmac_f32_e32 v119, 0x3f763a35, v55
	v_fmac_f32_e32 v121, 0x3f2c7751, v57
	;; [unrolled: 1-line block ×3, first 2 shown]
	s_delay_alu instid0(VALU_DEP_4) | instskip(SKIP_2) | instid1(VALU_DEP_2)
	v_dual_fmac_f32 v127, 0xbf06c442, v63 :: v_dual_add_f32 v14, v15, v14
	v_fmamk_f32 v15, v58, 0x3f6eb680, v124
	v_fmac_f32_e32 v123, 0xbeb8f4ab, v59
	v_dual_fmac_f32 v125, 0xbf7ee86f, v61 :: v_dual_add_f32 v14, v15, v14
	v_fmamk_f32 v15, v60, 0x3dbcf732, v126
	s_delay_alu instid0(VALU_DEP_1) | instskip(SKIP_2) | instid1(VALU_DEP_3)
	v_dual_add_f32 v14, v15, v14 :: v_dual_fmamk_f32 v15, v62, 0xbf59a7d5, v128
	v_mul_f32_e32 v131, 0x3dbcf732, v67
	v_mul_f32_e32 v67, 0x3f3d2fb0, v67
	v_dual_fmac_f32 v129, 0xbf2c7751, v51 :: v_dual_add_f32 v12, v15, v14
	s_delay_alu instid0(VALU_DEP_3) | instskip(SKIP_1) | instid1(VALU_DEP_2)
	v_dual_add_f32 v15, v5, v18 :: v_dual_fmamk_f32 v18, v50, 0x3f7ee86f, v131
	v_dual_fmac_f32 v106, 0xbf7ee86f, v51 :: v_dual_fmac_f32 v131, 0xbf7ee86f, v50
	v_dual_add_f32 v15, v18, v15 :: v_dual_fmamk_f32 v18, v53, 0x3f4c4adb, v133
	s_delay_alu instid0(VALU_DEP_1) | instskip(NEXT) | instid1(VALU_DEP_1)
	v_dual_add_f32 v15, v18, v15 :: v_dual_fmamk_f32 v18, v55, 0x3e3c28d5, v135
	v_dual_add_f32 v15, v18, v15 :: v_dual_fmamk_f32 v18, v57, 0xbf06c442, v137
	s_delay_alu instid0(VALU_DEP_1) | instskip(NEXT) | instid1(VALU_DEP_1)
	v_dual_add_f32 v15, v18, v15 :: v_dual_fmamk_f32 v18, v59, 0xbf763a35, v139
	v_dual_add_f32 v15, v18, v15 :: v_dual_fmamk_f32 v18, v61, 0xbf65296c, v141
	s_delay_alu instid0(VALU_DEP_1) | instskip(SKIP_1) | instid1(VALU_DEP_1)
	v_dual_mul_f32 v130, 0xbf2c7751, v64 :: v_dual_add_f32 v15, v18, v15
	v_fmamk_f32 v18, v63, 0xbeb8f4ab, v143
	v_dual_fmamk_f32 v14, v39, 0x3f3d2fb0, v130 :: v_dual_add_f32 v15, v18, v15
	s_delay_alu instid0(VALU_DEP_1) | instskip(SKIP_1) | instid1(VALU_DEP_2)
	v_add_f32_e32 v14, v4, v14
	v_fmamk_f32 v18, v62, 0x3f6eb680, v144
	v_dual_fmac_f32 v143, 0x3eb8f4ab, v63 :: v_dual_add_f32 v14, v19, v14
	v_fmamk_f32 v19, v52, 0xbf1a4643, v134
	s_delay_alu instid0(VALU_DEP_1) | instskip(NEXT) | instid1(VALU_DEP_1)
	v_dual_add_f32 v14, v19, v14 :: v_dual_fmamk_f32 v19, v54, 0xbf7ba420, v136
	v_dual_add_f32 v14, v19, v14 :: v_dual_fmamk_f32 v19, v56, 0xbf59a7d5, v138
	s_delay_alu instid0(VALU_DEP_1) | instskip(NEXT) | instid1(VALU_DEP_1)
	v_dual_add_f32 v14, v19, v14 :: v_dual_fmamk_f32 v19, v58, 0xbe8c1d8e, v140
	v_dual_add_f32 v14, v19, v14 :: v_dual_fmamk_f32 v19, v60, 0x3ee437d1, v142
	s_delay_alu instid0(VALU_DEP_1) | instskip(NEXT) | instid1(VALU_DEP_1)
	v_dual_add_f32 v14, v19, v14 :: v_dual_fmamk_f32 v19, v50, 0x3f2c7751, v67
	v_add_f32_e32 v14, v18, v14
	v_fmamk_f32 v18, v51, 0x3eb8f4ab, v65
	s_delay_alu instid0(VALU_DEP_1) | instskip(NEXT) | instid1(VALU_DEP_1)
	v_dual_add_f32 v18, v5, v18 :: v_dual_fmac_f32 v133, 0xbf4c4adb, v53
	v_dual_add_f32 v18, v19, v18 :: v_dual_fmamk_f32 v19, v53, 0x3f65296c, v69
	s_delay_alu instid0(VALU_DEP_1) | instskip(SKIP_1) | instid1(VALU_DEP_1)
	v_dual_fmac_f32 v135, 0xbe3c28d5, v55 :: v_dual_add_f32 v18, v19, v18
	v_fmamk_f32 v19, v55, 0x3f7ee86f, v71
	v_dual_fmac_f32 v137, 0x3f06c442, v57 :: v_dual_add_f32 v18, v19, v18
	v_fmamk_f32 v19, v57, 0x3f763a35, v73
	s_delay_alu instid0(VALU_DEP_1) | instskip(SKIP_3) | instid1(VALU_DEP_3)
	v_dual_fmac_f32 v139, 0x3f763a35, v59 :: v_dual_add_f32 v18, v19, v18
	v_fmamk_f32 v19, v59, 0x3f4c4adb, v75
	v_fmac_f32_e32 v141, 0x3f65296c, v61
	v_fmac_f32_e32 v22, 0x3eb8f4ab, v55
	v_dual_add_f32 v18, v19, v18 :: v_dual_fmamk_f32 v19, v61, 0x3f06c442, v77
	s_delay_alu instid0(VALU_DEP_1) | instskip(SKIP_2) | instid1(VALU_DEP_2)
	v_dual_fmac_f32 v65, 0xbeb8f4ab, v51 :: v_dual_add_f32 v18, v19, v18
	v_mul_f32_e32 v64, 0xbeb8f4ab, v64
	v_fmac_f32_e32 v67, 0xbf2c7751, v50
	v_fmamk_f32 v19, v39, 0x3f6eb680, v64
	s_delay_alu instid0(VALU_DEP_1) | instskip(NEXT) | instid1(VALU_DEP_1)
	v_add_f32_e32 v19, v4, v19
	v_add_f32_e32 v19, v20, v19
	v_fmamk_f32 v20, v52, 0x3ee437d1, v68
	v_fmac_f32_e32 v69, 0xbf65296c, v53
	s_delay_alu instid0(VALU_DEP_2) | instskip(SKIP_1) | instid1(VALU_DEP_2)
	v_dual_add_f32 v19, v20, v19 :: v_dual_fmamk_f32 v20, v54, 0x3dbcf732, v70
	v_fmac_f32_e32 v71, 0xbf7ee86f, v55
	v_add_f32_e32 v19, v20, v19
	v_fmamk_f32 v20, v56, 0xbe8c1d8e, v72
	v_fmac_f32_e32 v73, 0xbf763a35, v57
	s_delay_alu instid0(VALU_DEP_2) | instskip(SKIP_1) | instid1(VALU_DEP_2)
	v_dual_add_f32 v19, v20, v19 :: v_dual_fmamk_f32 v20, v58, 0xbf1a4643, v74
	v_fmac_f32_e32 v75, 0xbf4c4adb, v59
	v_add_f32_e32 v19, v20, v19
	v_fmamk_f32 v20, v60, 0xbf59a7d5, v76
	s_delay_alu instid0(VALU_DEP_1) | instskip(SKIP_1) | instid1(VALU_DEP_1)
	v_dual_fmac_f32 v77, 0xbf06c442, v61 :: v_dual_add_f32 v20, v20, v19
	v_fmamk_f32 v19, v63, 0x3e3c28d5, v79
	v_dual_add_f32 v19, v19, v18 :: v_dual_fmamk_f32 v18, v62, 0xbf7ba420, v78
	s_delay_alu instid0(VALU_DEP_1) | instskip(SKIP_1) | instid1(VALU_DEP_1)
	v_dual_fmac_f32 v79, 0xbe3c28d5, v63 :: v_dual_add_f32 v18, v18, v20
	v_add_f32_e32 v20, v5, v85
	v_add_f32_e32 v20, v86, v20
	s_delay_alu instid0(VALU_DEP_1) | instskip(SKIP_1) | instid1(VALU_DEP_2)
	v_add_f32_e32 v20, v80, v20
	v_add_f32_e32 v80, v5, v96
	;; [unrolled: 1-line block ×3, first 2 shown]
	v_fma_f32 v81, 0x3ee437d1, v62, -v109
	s_delay_alu instid0(VALU_DEP_2) | instskip(SKIP_1) | instid1(VALU_DEP_2)
	v_add_f32_e32 v20, v82, v20
	v_fma_f32 v82, 0xbe8c1d8e, v39, -v95
	v_add_f32_e32 v20, v83, v20
	v_add_f32_e32 v80, v97, v80
	s_delay_alu instid0(VALU_DEP_2) | instskip(NEXT) | instid1(VALU_DEP_2)
	v_add_f32_e32 v20, v84, v20
	v_add_f32_e32 v80, v98, v80
	s_delay_alu instid0(VALU_DEP_2) | instskip(NEXT) | instid1(VALU_DEP_2)
	v_add_f32_e32 v21, v90, v20
	v_add_f32_e32 v80, v99, v80
	;; [unrolled: 1-line block ×3, first 2 shown]
	v_fma_f32 v81, 0xbf59a7d5, v49, -v101
	s_delay_alu instid0(VALU_DEP_3) | instskip(NEXT) | instid1(VALU_DEP_1)
	v_add_f32_e32 v80, v100, v80
	v_dual_add_f32 v23, v102, v80 :: v_dual_add_f32 v80, v4, v82
	s_delay_alu instid0(VALU_DEP_1) | instskip(NEXT) | instid1(VALU_DEP_1)
	v_dual_add_f32 v82, v5, v106 :: v_dual_add_f32 v23, v110, v23
	v_dual_add_f32 v80, v81, v80 :: v_dual_add_f32 v81, v107, v82
	v_fma_f32 v82, 0xbf7ba420, v49, -v104
	s_delay_alu instid0(VALU_DEP_2) | instskip(NEXT) | instid1(VALU_DEP_2)
	v_dual_add_f32 v23, v24, v23 :: v_dual_add_f32 v34, v34, v80
	v_dual_add_f32 v80, v103, v81 :: v_dual_add_f32 v27, v82, v27
	v_fma_f32 v81, 0xbe8c1d8e, v52, -v108
	v_fma_f32 v24, 0x3f6eb680, v60, -v29
	s_delay_alu instid0(VALU_DEP_4) | instskip(SKIP_1) | instid1(VALU_DEP_4)
	v_add_f32_e32 v33, v33, v34
	v_fma_f32 v34, 0x3f6eb680, v54, -v112
	v_dual_add_f32 v22, v22, v80 :: v_dual_add_f32 v27, v81, v27
	v_fma_f32 v29, 0xbf1a4643, v60, -v114
	s_delay_alu instid0(VALU_DEP_4) | instskip(SKIP_1) | instid1(VALU_DEP_4)
	v_add_f32_e32 v32, v32, v33
	v_fma_f32 v33, 0xbf7ba420, v62, -v78
	v_dual_add_f32 v22, v35, v22 :: v_dual_add_f32 v27, v34, v27
	v_lshl_add_u32 v34, v38, 7, v48
	s_delay_alu instid0(VALU_DEP_4) | instskip(NEXT) | instid1(VALU_DEP_3)
	v_add_f32_e32 v28, v28, v32
	v_dual_add_f32 v22, v111, v22 :: v_dual_add_f32 v25, v25, v27
	v_fma_f32 v27, 0xbf59a7d5, v58, -v105
	s_delay_alu instid0(VALU_DEP_3) | instskip(NEXT) | instid1(VALU_DEP_3)
	v_add_f32_e32 v24, v24, v28
	v_add_f32_e32 v28, v30, v22
	;; [unrolled: 1-line block ×3, first 2 shown]
	s_delay_alu instid0(VALU_DEP_3) | instskip(SKIP_1) | instid1(VALU_DEP_3)
	v_dual_add_f32 v27, v27, v25 :: v_dual_add_f32 v22, v26, v24
	v_fma_f32 v24, 0x3ee437d1, v39, -v115
	v_add_f32_e32 v30, v131, v30
	s_delay_alu instid0(VALU_DEP_3)
	v_add_f32_e32 v26, v29, v27
	v_add_f32_e32 v27, v5, v31
	;; [unrolled: 1-line block ×4, first 2 shown]
	v_fma_f32 v28, 0xbf1a4643, v49, -v116
	v_add_f32_e32 v30, v133, v30
	v_add_f32_e32 v27, v113, v27
	;; [unrolled: 1-line block ×3, first 2 shown]
	v_fma_f32 v29, 0x3f3d2fb0, v62, -v47
	v_fma_f32 v31, 0xbf59a7d5, v62, -v128
	s_delay_alu instid0(VALU_DEP_4) | instskip(NEXT) | instid1(VALU_DEP_4)
	v_dual_add_f32 v30, v135, v30 :: v_dual_add_f32 v27, v117, v27
	v_add_f32_e32 v5, v69, v5
	s_delay_alu instid0(VALU_DEP_2) | instskip(NEXT) | instid1(VALU_DEP_2)
	v_dual_add_f32 v30, v137, v30 :: v_dual_add_f32 v27, v119, v27
	v_add_f32_e32 v5, v71, v5
	s_delay_alu instid0(VALU_DEP_2) | instskip(NEXT) | instid1(VALU_DEP_2)
	v_dual_add_f32 v30, v139, v30 :: v_dual_add_f32 v27, v121, v27
	v_dual_add_f32 v24, v4, v24 :: v_dual_add_f32 v5, v73, v5
	s_delay_alu instid0(VALU_DEP_1) | instskip(SKIP_1) | instid1(VALU_DEP_3)
	v_dual_add_f32 v27, v123, v27 :: v_dual_add_f32 v24, v28, v24
	v_fma_f32 v28, 0xbf7ba420, v52, -v118
	v_add_f32_e32 v5, v75, v5
	s_delay_alu instid0(VALU_DEP_2) | instskip(SKIP_1) | instid1(VALU_DEP_2)
	v_dual_add_f32 v27, v125, v27 :: v_dual_add_f32 v24, v28, v24
	v_fma_f32 v28, 0xbe8c1d8e, v54, -v120
	v_dual_add_f32 v32, v77, v5 :: v_dual_add_f32 v27, v127, v27
	s_delay_alu instid0(VALU_DEP_2) | instskip(SKIP_1) | instid1(VALU_DEP_1)
	v_add_f32_e32 v24, v28, v24
	v_fma_f32 v28, 0x3f3d2fb0, v56, -v122
	v_add_f32_e32 v24, v28, v24
	v_fma_f32 v28, 0x3f6eb680, v58, -v124
	s_delay_alu instid0(VALU_DEP_1) | instskip(SKIP_1) | instid1(VALU_DEP_1)
	v_add_f32_e32 v24, v28, v24
	v_fma_f32 v28, 0x3dbcf732, v60, -v126
	v_add_f32_e32 v28, v28, v24
	v_add_f32_e32 v24, v29, v26
	;; [unrolled: 1-line block ×3, first 2 shown]
	v_fma_f32 v30, 0x3f6eb680, v39, -v64
	s_delay_alu instid0(VALU_DEP_4) | instskip(SKIP_2) | instid1(VALU_DEP_2)
	v_add_f32_e32 v26, v31, v28
	v_fma_f32 v28, 0x3f3d2fb0, v39, -v130
	v_fma_f32 v31, 0x3dbcf732, v49, -v132
	v_dual_add_f32 v5, v143, v29 :: v_dual_add_f32 v28, v4, v28
	v_add_f32_e32 v4, v4, v30
	v_fma_f32 v30, 0x3f3d2fb0, v49, -v66
	s_delay_alu instid0(VALU_DEP_3) | instskip(SKIP_1) | instid1(VALU_DEP_3)
	v_add_f32_e32 v28, v31, v28
	v_fma_f32 v31, 0xbf1a4643, v52, -v134
	v_add_f32_e32 v4, v30, v4
	v_fma_f32 v30, 0x3ee437d1, v52, -v68
	s_delay_alu instid0(VALU_DEP_3) | instskip(SKIP_1) | instid1(VALU_DEP_3)
	v_add_f32_e32 v28, v31, v28
	v_fma_f32 v31, 0xbf7ba420, v54, -v136
	;; [unrolled: 5-line block ×6, first 2 shown]
	v_add_f32_e32 v30, v30, v4
	v_add_f32_e32 v29, v79, v32
	s_delay_alu instid0(VALU_DEP_3) | instskip(NEXT) | instid1(VALU_DEP_3)
	v_add_f32_e32 v4, v31, v28
	v_add_f32_e32 v28, v33, v30
	ds_store_2addr_b64 v34, v[8:9], v[18:19] offset1:1
	ds_store_2addr_b64 v34, v[14:15], v[12:13] offset0:2 offset1:3
	ds_store_2addr_b64 v34, v[10:11], v[16:17] offset0:4 offset1:5
	;; [unrolled: 1-line block ×7, first 2 shown]
	ds_store_b64 v34, v[28:29] offset:128
.LBB0_15:
	s_wait_alu 0xfffe
	s_or_b32 exec_lo, exec_lo, s1
	v_and_b32_e32 v4, 0xff, v38
	s_load_b64 s[2:3], s[2:3], 0x0
	global_wb scope:SCOPE_SE
	s_wait_dscnt 0x0
	s_wait_kmcnt 0x0
	s_barrier_signal -1
	s_barrier_wait -1
	v_mul_lo_u16 v4, 0xf1, v4
	global_inv scope:SCOPE_SE
	v_cmp_gt_u32_e64 s0, 0x88, v38
	v_lshrrev_b16 v24, 12, v4
	s_delay_alu instid0(VALU_DEP_1) | instskip(NEXT) | instid1(VALU_DEP_1)
	v_mul_lo_u16 v4, v24, 17
	v_sub_nc_u16 v4, v38, v4
	s_delay_alu instid0(VALU_DEP_1) | instskip(NEXT) | instid1(VALU_DEP_1)
	v_and_b32_e32 v34, 0xff, v4
	v_mul_u32_u24_e32 v4, 7, v34
	s_delay_alu instid0(VALU_DEP_1)
	v_lshlrev_b32_e32 v16, 3, v4
	s_clause 0x3
	global_load_b128 v[4:7], v16, s[8:9]
	global_load_b128 v[8:11], v16, s[8:9] offset:16
	global_load_b128 v[12:15], v16, s[8:9] offset:32
	global_load_b64 v[32:33], v16, s[8:9] offset:48
	v_add_nc_u32_e32 v20, 0xa00, v48
	v_add_nc_u32_e32 v28, 0x2200, v48
	ds_load_2addr_b64 v[16:19], v48 offset1:187
	v_and_b32_e32 v35, 0xffff, v24
	ds_load_2addr_b64 v[20:23], v20 offset0:54 offset1:241
	v_add_nc_u32_e32 v25, 0x1600, v48
	s_wait_loadcnt_dscnt 0x300
	v_dual_mul_f32 v39, v7, v21 :: v_dual_lshlrev_b32 v34, 3, v34
	s_wait_loadcnt 0x2
	v_dual_mul_f32 v7, v7, v20 :: v_dual_mul_f32 v44, v9, v23
	ds_load_2addr_b64 v[24:27], v25 offset0:44 offset1:231
	ds_load_2addr_b64 v[28:31], v28 offset0:34 offset1:221
	v_mul_f32_e32 v9, v9, v22
	v_fmac_f32_e32 v39, v6, v20
	global_wb scope:SCOPE_SE
	s_wait_loadcnt_dscnt 0x0
	s_barrier_signal -1
	s_barrier_wait -1
	global_inv scope:SCOPE_SE
	v_fmac_f32_e32 v44, v8, v22
	v_mul_f32_e32 v46, v13, v27
	v_mul_u32_u24_e32 v35, 0x440, v35
	v_mul_f32_e32 v47, v15, v29
	v_mul_f32_e32 v45, v11, v25
	s_delay_alu instid0(VALU_DEP_4) | instskip(NEXT) | instid1(VALU_DEP_4)
	v_dual_mul_f32 v11, v11, v24 :: v_dual_fmac_f32 v46, v12, v26
	v_add3_u32 v34, 0, v35, v34
	v_mul_f32_e32 v35, v5, v19
	v_mul_f32_e32 v5, v5, v18
	v_fmac_f32_e32 v47, v14, v28
	v_mul_f32_e32 v13, v13, v26
	s_delay_alu instid0(VALU_DEP_4) | instskip(NEXT) | instid1(VALU_DEP_4)
	v_fmac_f32_e32 v35, v4, v18
	v_fma_f32 v4, v4, v19, -v5
	v_fma_f32 v5, v6, v21, -v7
	v_fma_f32 v6, v8, v23, -v9
	v_fma_f32 v8, v12, v27, -v13
	v_mul_f32_e32 v49, v31, v33
	v_fma_f32 v7, v10, v25, -v11
	s_delay_alu instid0(VALU_DEP_3) | instskip(NEXT) | instid1(VALU_DEP_3)
	v_sub_f32_e32 v8, v4, v8
	v_fmac_f32_e32 v49, v30, v32
	v_mul_f32_e32 v15, v15, v28
	s_delay_alu instid0(VALU_DEP_3) | instskip(SKIP_1) | instid1(VALU_DEP_3)
	v_fma_f32 v4, v4, 2.0, -v8
	v_fmac_f32_e32 v45, v10, v24
	v_fma_f32 v9, v14, v29, -v15
	v_sub_f32_e32 v14, v44, v49
	s_delay_alu instid0(VALU_DEP_3) | instskip(NEXT) | instid1(VALU_DEP_2)
	v_sub_f32_e32 v11, v16, v45
	v_dual_sub_f32 v22, v8, v14 :: v_dual_sub_f32 v9, v5, v9
	v_sub_f32_e32 v12, v39, v47
	v_fma_f32 v19, v44, 2.0, -v14
	s_delay_alu instid0(VALU_DEP_3) | instskip(NEXT) | instid1(VALU_DEP_4)
	v_fma_f32 v24, v8, 2.0, -v22
	v_add_f32_e32 v20, v11, v9
	v_sub_f32_e32 v13, v35, v46
	v_mul_f32_e32 v33, v30, v33
	s_delay_alu instid0(VALU_DEP_2) | instskip(NEXT) | instid1(VALU_DEP_2)
	v_fma_f32 v18, v35, 2.0, -v13
	v_fma_f32 v10, v31, v32, -v33
	s_delay_alu instid0(VALU_DEP_1) | instskip(SKIP_3) | instid1(VALU_DEP_4)
	v_sub_f32_e32 v10, v6, v10
	v_fma_f32 v23, v11, 2.0, -v20
	v_sub_f32_e32 v7, v17, v7
	v_fma_f32 v15, v16, 2.0, -v11
	v_fma_f32 v6, v6, 2.0, -v10
	s_delay_alu instid0(VALU_DEP_3) | instskip(SKIP_1) | instid1(VALU_DEP_1)
	v_fma_f32 v16, v17, 2.0, -v7
	v_fma_f32 v17, v39, 2.0, -v12
	v_dual_sub_f32 v6, v4, v6 :: v_dual_sub_f32 v17, v15, v17
	s_delay_alu instid0(VALU_DEP_1) | instskip(NEXT) | instid1(VALU_DEP_2)
	v_fma_f32 v4, v4, 2.0, -v6
	v_fma_f32 v25, v15, 2.0, -v17
	v_dual_sub_f32 v21, v7, v12 :: v_dual_add_f32 v12, v13, v10
	s_delay_alu instid0(VALU_DEP_1) | instskip(NEXT) | instid1(VALU_DEP_2)
	v_dual_add_f32 v8, v17, v6 :: v_dual_fmamk_f32 v11, v22, 0x3f3504f3, v21
	v_fmamk_f32 v10, v12, 0x3f3504f3, v20
	s_delay_alu instid0(VALU_DEP_2) | instskip(NEXT) | instid1(VALU_DEP_2)
	v_fmac_f32_e32 v11, 0xbf3504f3, v12
	v_fmac_f32_e32 v10, 0x3f3504f3, v22
	v_fma_f32 v5, v5, 2.0, -v9
	v_sub_f32_e32 v9, v18, v19
	v_fma_f32 v19, v13, 2.0, -v12
	s_delay_alu instid0(VALU_DEP_3) | instskip(NEXT) | instid1(VALU_DEP_3)
	v_sub_f32_e32 v5, v16, v5
	v_fma_f32 v13, v18, 2.0, -v9
	s_delay_alu instid0(VALU_DEP_3) | instskip(SKIP_1) | instid1(VALU_DEP_4)
	v_fmamk_f32 v14, v19, 0xbf3504f3, v23
	v_fma_f32 v18, v20, 2.0, -v10
	v_fma_f32 v26, v16, 2.0, -v5
	s_delay_alu instid0(VALU_DEP_4) | instskip(SKIP_2) | instid1(VALU_DEP_4)
	v_sub_f32_e32 v12, v25, v13
	v_fma_f32 v7, v7, 2.0, -v21
	v_dual_sub_f32 v9, v5, v9 :: v_dual_fmac_f32 v14, 0x3f3504f3, v24
	v_sub_f32_e32 v13, v26, v4
	v_fma_f32 v16, v17, 2.0, -v8
	s_delay_alu instid0(VALU_DEP_4) | instskip(NEXT) | instid1(VALU_DEP_4)
	v_fmamk_f32 v15, v24, 0xbf3504f3, v7
	v_fma_f32 v17, v5, 2.0, -v9
	v_fma_f32 v4, v25, 2.0, -v12
	v_fma_f32 v5, v26, 2.0, -v13
	v_fma_f32 v6, v23, 2.0, -v14
	v_fmac_f32_e32 v15, 0xbf3504f3, v19
	v_fma_f32 v19, v21, 2.0, -v11
	s_delay_alu instid0(VALU_DEP_2)
	v_fma_f32 v7, v7, 2.0, -v15
	ds_store_2addr_b64 v34, v[8:9], v[10:11] offset0:102 offset1:119
	ds_store_2addr_b64 v34, v[16:17], v[18:19] offset0:34 offset1:51
	;; [unrolled: 1-line block ×3, first 2 shown]
	ds_store_2addr_b64 v34, v[4:5], v[6:7] offset1:17
	global_wb scope:SCOPE_SE
	s_wait_dscnt 0x0
	s_barrier_signal -1
	s_barrier_wait -1
	global_inv scope:SCOPE_SE
	s_and_saveexec_b32 s1, s0
	s_cbranch_execz .LBB0_17
; %bb.16:
	v_add_nc_u32_e32 v0, 0x800, v48
	v_add_nc_u32_e32 v1, 0x1000, v48
	;; [unrolled: 1-line block ×4, first 2 shown]
	ds_load_2addr_b64 v[4:7], v48 offset1:136
	ds_load_2addr_b64 v[16:19], v0 offset0:16 offset1:152
	ds_load_2addr_b64 v[12:15], v1 offset0:32 offset1:168
	;; [unrolled: 1-line block ×4, first 2 shown]
	ds_load_b64 v[42:43], v48 offset:10880
.LBB0_17:
	s_wait_alu 0xfffe
	s_or_b32 exec_lo, exec_lo, s1
	global_wb scope:SCOPE_SE
	s_wait_dscnt 0x0
	s_barrier_signal -1
	s_barrier_wait -1
	global_inv scope:SCOPE_SE
	s_and_saveexec_b32 s1, s0
	s_cbranch_execz .LBB0_19
; %bb.18:
	v_dual_mov_b32 v21, 0 :: v_dual_add_nc_u32 v20, 0xffffff78, v38
	s_delay_alu instid0(VALU_DEP_1) | instskip(NEXT) | instid1(VALU_DEP_1)
	v_cndmask_b32_e64 v20, v20, v38, s0
	v_mul_i32_i24_e32 v20, 10, v20
	s_delay_alu instid0(VALU_DEP_1) | instskip(NEXT) | instid1(VALU_DEP_1)
	v_lshlrev_b64_e32 v[20:21], 3, v[20:21]
	v_add_co_u32 v44, s0, s8, v20
	s_wait_alu 0xf1ff
	s_delay_alu instid0(VALU_DEP_2)
	v_add_co_ci_u32_e64 v45, s0, s9, v21, s0
	s_clause 0x4
	global_load_b128 v[20:23], v[44:45], off offset:952
	global_load_b128 v[24:27], v[44:45], off offset:1016
	;; [unrolled: 1-line block ×5, first 2 shown]
	v_add_nc_u32_e32 v39, 0x800, v48
	v_add_nc_u32_e32 v49, 0x1000, v48
	;; [unrolled: 1-line block ×3, first 2 shown]
	s_wait_loadcnt 0x4
	v_dual_mul_f32 v52, v7, v21 :: v_dual_add_nc_u32 v51, 0x2000, v48
	s_wait_loadcnt 0x3
	v_mul_f32_e32 v53, v43, v27
	s_wait_loadcnt 0x2
	v_dual_mul_f32 v56, v19, v29 :: v_dual_mul_f32 v27, v42, v27
	s_wait_loadcnt 0x0
	v_mul_f32_e32 v60, v15, v45
	v_dual_mul_f32 v21, v6, v21 :: v_dual_mul_f32 v58, v13, v31
	v_dual_mul_f32 v54, v17, v23 :: v_dual_mul_f32 v55, v3, v25
	v_dual_fmac_f32 v52, v6, v20 :: v_dual_mul_f32 v23, v16, v23
	v_dual_fmac_f32 v56, v18, v28 :: v_dual_mul_f32 v57, v1, v35
	s_delay_alu instid0(VALU_DEP_4) | instskip(SKIP_4) | instid1(VALU_DEP_4)
	v_fmac_f32_e32 v58, v12, v30
	v_dual_mul_f32 v35, v0, v35 :: v_dual_fmac_f32 v60, v14, v44
	v_dual_mul_f32 v25, v2, v25 :: v_dual_fmac_f32 v54, v16, v22
	v_fmac_f32_e32 v55, v2, v24
	v_fma_f32 v2, v17, v22, -v23
	v_fma_f32 v17, v1, v34, -v35
	v_mul_f32_e32 v61, v9, v47
	v_fma_f32 v6, v7, v20, -v21
	v_fma_f32 v16, v3, v24, -v25
	v_mul_f32_e32 v31, v12, v31
	v_fmac_f32_e32 v57, v0, v34
	v_fmac_f32_e32 v61, v8, v46
	;; [unrolled: 1-line block ×3, first 2 shown]
	v_fma_f32 v26, v43, v26, -v27
	v_mul_f32_e32 v59, v11, v33
	v_mul_f32_e32 v33, v10, v33
	;; [unrolled: 1-line block ×3, first 2 shown]
	v_add_f32_e32 v12, v2, v16
	v_fma_f32 v3, v13, v30, -v31
	v_fmac_f32_e32 v59, v10, v32
	v_add_f32_e32 v10, v6, v26
	v_sub_f32_e32 v22, v6, v26
	v_dual_sub_f32 v24, v2, v16 :: v_dual_sub_f32 v13, v56, v57
	v_add_f32_e32 v6, v5, v6
	v_fma_f32 v1, v11, v32, -v33
	v_mul_f32_e32 v47, v8, v47
	v_add_f32_e32 v32, v4, v52
	v_fma_f32 v8, v15, v44, -v45
	v_dual_sub_f32 v15, v58, v59 :: v_dual_mul_f32 v64, 0xbf0a6770, v13
	s_delay_alu instid0(VALU_DEP_4) | instskip(SKIP_2) | instid1(VALU_DEP_4)
	v_fma_f32 v7, v9, v46, -v47
	v_mul_f32_e32 v29, v18, v29
	v_add_f32_e32 v18, v3, v1
	v_mul_f32_e32 v42, 0xbf0a6770, v15
	v_mul_f32_e32 v44, 0xbf7d64f0, v22
	v_add_f32_e32 v20, v8, v7
	v_fma_f32 v0, v19, v28, -v29
	v_add_f32_e32 v28, v58, v59
	v_add_f32_e32 v30, v60, v61
	v_sub_f32_e32 v9, v52, v53
	v_sub_f32_e32 v11, v54, v55
	v_sub_f32_e32 v27, v0, v17
	v_sub_f32_e32 v19, v60, v61
	v_add_f32_e32 v14, v0, v17
	v_dual_sub_f32 v29, v3, v1 :: v_dual_mul_f32 v78, 0x3f0a6770, v24
	v_sub_f32_e32 v31, v8, v7
	v_dual_mul_f32 v33, 0xbf7d64f0, v9 :: v_dual_add_f32 v2, v6, v2
	v_dual_mul_f32 v46, 0x3f68dda4, v27 :: v_dual_add_f32 v25, v56, v57
	v_mul_f32_e32 v66, 0x3f68dda4, v19
	v_mul_f32_e32 v62, 0xbf4178ce, v9
	v_dual_mul_f32 v65, 0xbe903f40, v15 :: v_dual_mul_f32 v72, 0xbe903f40, v9
	v_mul_f32_e32 v76, 0xbf7d64f0, v19
	v_dual_mul_f32 v69, 0xbf0a6770, v27 :: v_dual_add_f32 v0, v2, v0
	v_mul_f32_e32 v34, 0x3e903f40, v11
	v_dual_add_f32 v23, v54, v55 :: v_dual_mul_f32 v68, 0x3f7d64f0, v24
	v_dual_mul_f32 v35, 0x3f68dda4, v13 :: v_dual_add_f32 v6, v32, v54
	v_dual_mul_f32 v43, 0xbf4178ce, v19 :: v_dual_mul_f32 v74, 0xbf4178ce, v13
	v_mul_f32_e32 v47, 0xbf0a6770, v29
	v_dual_mul_f32 v63, 0x3f7d64f0, v11 :: v_dual_mul_f32 v90, 0x3f7d64f0, v29
	v_dual_mul_f32 v67, 0xbf4178ce, v22 :: v_dual_mul_f32 v88, 0xbf4178ce, v24
	v_mul_f32_e32 v70, 0xbe903f40, v29
	v_dual_add_f32 v21, v52, v53 :: v_dual_mul_f32 v52, 0xbf4178ce, v31
	v_dual_mul_f32 v71, 0x3f68dda4, v31 :: v_dual_mul_f32 v80, 0x3f68dda4, v29
	v_dual_mul_f32 v82, 0x3ed4b147, v10 :: v_dual_mul_f32 v93, 0x3ed4b147, v12
	v_dual_mul_f32 v84, 0xbf75a155, v14 :: v_dual_fmamk_f32 v115, v10, 0xbf75a155, v72
	v_dual_mul_f32 v85, 0xbe11bafb, v18 :: v_dual_fmamk_f32 v32, v10, 0xbe11bafb, v33
	v_mul_f32_e32 v87, 0xbf68dda4, v22
	v_mul_f32_e32 v92, 0x3f575c64, v10
	v_dual_mul_f32 v94, 0xbe11bafb, v14 :: v_dual_fmamk_f32 v119, v20, 0xbe11bafb, v76
	v_mul_f32_e32 v96, 0xbf75a155, v20
	v_mul_f32_e32 v45, 0x3e903f40, v24
	;; [unrolled: 1-line block ×4, first 2 shown]
	v_fma_f32 v112, 0x3f575c64, v25, -v69
	v_fma_f32 v72, 0xbf75a155, v10, -v72
	v_mul_f32_e32 v29, 0xbf4178ce, v29
	v_fmamk_f32 v105, v10, 0xbf27a4f4, v62
	v_fma_f32 v62, 0xbf27a4f4, v10, -v62
	v_fmac_f32_e32 v69, 0x3f575c64, v25
	v_dual_mul_f32 v73, 0x3f0a6770, v11 :: v_dual_fmamk_f32 v130, v9, 0x3f0a6770, v92
	v_fma_f32 v10, 0xbe11bafb, v10, -v33
	v_dual_mul_f32 v75, 0x3f68dda4, v15 :: v_dual_add_f32 v2, v6, v56
	v_mul_f32_e32 v81, 0xbf7d64f0, v31
	v_mul_f32_e32 v83, 0xbf27a4f4, v12
	v_dual_mul_f32 v86, 0x3f575c64, v20 :: v_dual_fmamk_f32 v107, v14, 0x3f575c64, v64
	v_mul_f32_e32 v89, 0x3e903f40, v27
	v_dual_mul_f32 v95, 0xbf27a4f4, v18 :: v_dual_fmamk_f32 v126, v23, 0xbf27a4f4, v88
	v_mul_f32_e32 v22, 0xbf0a6770, v22
	v_dual_fmamk_f32 v99, v20, 0xbf27a4f4, v43 :: v_dual_add_f32 v10, v5, v10
	v_fma_f32 v100, 0xbe11bafb, v21, -v44
	v_mul_f32_e32 v79, 0xbf4178ce, v27
	v_mul_f32_e32 v27, 0xbf7d64f0, v27
	v_fmamk_f32 v106, v12, 0xbe11bafb, v63
	v_fma_f32 v110, 0xbf27a4f4, v21, -v67
	v_mul_f32_e32 v91, 0x3f0a6770, v31
	v_mul_f32_e32 v31, 0xbe903f40, v31
	v_dual_fmamk_f32 v116, v12, 0x3f575c64, v73 :: v_dual_fmamk_f32 v135, v21, 0x3f575c64, v22
	v_fma_f32 v73, 0x3f575c64, v12, -v73
	v_fma_f32 v63, 0xbe11bafb, v12, -v63
	v_dual_fmac_f32 v67, 0xbf27a4f4, v21 :: v_dual_add_f32 v0, v0, v3
	v_dual_fmamk_f32 v125, v21, 0x3ed4b147, v87 :: v_dual_fmamk_f32 v136, v23, 0x3ed4b147, v24
	v_fmamk_f32 v33, v9, 0x3f68dda4, v82
	v_fmamk_f32 v132, v13, 0x3f7d64f0, v94
	;; [unrolled: 1-line block ×4, first 2 shown]
	v_fma_f32 v12, 0xbf75a155, v12, -v34
	v_fma_f32 v6, 0x3ed4b147, v21, -v87
	v_fmac_f32_e32 v94, 0xbf7d64f0, v13
	v_dual_fmac_f32 v44, 0xbe11bafb, v21 :: v_dual_fmamk_f32 v137, v25, 0xbe11bafb, v27
	v_fmac_f32_e32 v96, 0xbe903f40, v19
	v_fma_f32 v120, 0xbf75a155, v21, -v77
	v_fmac_f32_e32 v77, 0xbf75a155, v21
	v_fmamk_f32 v97, v14, 0x3ed4b147, v35
	v_fmamk_f32 v98, v18, 0x3f575c64, v42
	v_fma_f32 v101, 0xbf75a155, v23, -v45
	v_fma_f32 v102, 0x3ed4b147, v25, -v46
	;; [unrolled: 1-line block ×3, first 2 shown]
	v_fmac_f32_e32 v47, 0x3f575c64, v28
	v_fma_f32 v104, 0xbf27a4f4, v30, -v52
	v_dual_fmamk_f32 v109, v20, 0x3ed4b147, v66 :: v_dual_fmamk_f32 v118, v18, 0x3ed4b147, v75
	v_fma_f32 v111, 0xbe11bafb, v23, -v68
	v_fma_f32 v113, 0xbf75a155, v28, -v70
	;; [unrolled: 1-line block ×3, first 2 shown]
	v_fmamk_f32 v117, v14, 0xbf27a4f4, v74
	v_fma_f32 v121, 0x3f575c64, v23, -v78
	v_fma_f32 v123, 0x3ed4b147, v28, -v80
	;; [unrolled: 1-line block ×5, first 2 shown]
	v_fmac_f32_e32 v80, 0x3ed4b147, v28
	v_fma_f32 v64, 0x3f575c64, v14, -v64
	v_fma_f32 v66, 0x3ed4b147, v20, -v66
	v_fmac_f32_e32 v68, 0xbe11bafb, v23
	v_dual_fmac_f32 v71, 0x3ed4b147, v30 :: v_dual_fmac_f32 v46, 0x3ed4b147, v25
	v_fma_f32 v14, 0x3ed4b147, v14, -v35
	v_fma_f32 v20, 0xbf27a4f4, v20, -v43
	v_fmac_f32_e32 v45, 0xbf75a155, v23
	v_fmac_f32_e32 v52, 0xbf27a4f4, v30
	v_fmamk_f32 v34, v11, 0x3f4178ce, v83
	v_dual_fmamk_f32 v35, v13, 0xbe903f40, v84 :: v_dual_add_f32 v2, v2, v58
	v_dual_fmamk_f32 v43, v19, 0xbf0a6770, v86 :: v_dual_add_f32 v6, v4, v6
	v_fmamk_f32 v138, v28, 0xbf27a4f4, v29
	v_fmamk_f32 v108, v18, 0xbf75a155, v65
	v_fma_f32 v65, 0xbf75a155, v18, -v65
	v_fma_f32 v18, 0x3f575c64, v18, -v42
	v_fmamk_f32 v42, v15, 0xbf7d64f0, v85
	v_fma_f32 v124, 0xbe11bafb, v30, -v81
	v_fmac_f32_e32 v81, 0xbe11bafb, v30
	v_fmac_f32_e32 v82, 0xbf68dda4, v9
	;; [unrolled: 1-line block ×4, first 2 shown]
	v_dual_fmac_f32 v70, 0xbf75a155, v28 :: v_dual_fmamk_f32 v127, v25, 0xbf75a155, v89
	v_fmac_f32_e32 v85, 0x3f7d64f0, v15
	v_fmac_f32_e32 v86, 0x3f0a6770, v19
	v_fma_f32 v56, 0xbf27a4f4, v23, -v88
	v_fma_f32 v87, 0xbf75a155, v25, -v89
	;; [unrolled: 1-line block ×3, first 2 shown]
	v_fmac_f32_e32 v92, 0xbf0a6770, v9
	v_fma_f32 v9, 0x3f575c64, v21, -v22
	v_fmamk_f32 v131, v11, 0x3f68dda4, v93
	v_fmac_f32_e32 v93, 0xbf68dda4, v11
	v_fma_f32 v11, 0x3ed4b147, v23, -v24
	v_fma_f32 v13, 0xbe11bafb, v25, -v27
	;; [unrolled: 1-line block ×3, first 2 shown]
	v_add_f32_e32 v19, v5, v32
	v_add_f32_e32 v22, v4, v100
	v_fma_f32 v122, 0xbf27a4f4, v25, -v79
	v_dual_fmac_f32 v79, 0xbf27a4f4, v25 :: v_dual_add_f32 v24, v4, v110
	v_dual_fmac_f32 v78, 0x3f575c64, v23 :: v_dual_fmamk_f32 v129, v30, 0x3f575c64, v91
	v_fma_f32 v89, 0x3f575c64, v30, -v91
	v_add_f32_e32 v23, v5, v105
	v_fmamk_f32 v133, v15, 0x3f4178ce, v95
	v_dual_fmac_f32 v95, 0xbf4178ce, v15 :: v_dual_add_f32 v10, v12, v10
	v_fma_f32 v15, 0xbf27a4f4, v28, -v29
	v_add_f32_e32 v25, v5, v115
	v_fmamk_f32 v139, v30, 0xbf75a155, v31
	v_dual_add_f32 v27, v4, v120 :: v_dual_add_f32 v30, v5, v62
	v_add_f32_e32 v31, v4, v67
	v_add_f32_e32 v32, v4, v44
	;; [unrolled: 1-line block ×4, first 2 shown]
	v_dual_fmamk_f32 v128, v28, 0xbe11bafb, v90 :: v_dual_add_f32 v33, v5, v33
	v_add_f32_e32 v28, v5, v72
	v_dual_add_f32 v62, v5, v130 :: v_dual_add_f32 v67, v4, v135
	v_dual_add_f32 v3, v5, v82 :: v_dual_add_f32 v4, v4, v9
	;; [unrolled: 1-line block ×5, first 2 shown]
	v_add_f32_e32 v6, v56, v6
	v_dual_add_f32 v24, v116, v25 :: v_dual_add_f32 v25, v121, v27
	v_add_f32_e32 v4, v11, v4
	v_dual_add_f32 v27, v73, v28 :: v_dual_add_f32 v10, v14, v10
	;; [unrolled: 2-line block ×5, first 2 shown]
	v_add_f32_e32 v33, v131, v62
	v_add_f32_e32 v3, v83, v3
	v_dual_add_f32 v11, v107, v22 :: v_dual_add_f32 v0, v0, v7
	s_delay_alu instid0(VALU_DEP_4)
	v_dual_add_f32 v5, v93, v5 :: v_dual_add_f32 v12, v46, v12
	v_add_f32_e32 v22, v117, v24
	v_add_f32_e32 v24, v74, v27
	;; [unrolled: 1-line block ×3, first 2 shown]
	v_dual_add_f32 v19, v112, v23 :: v_dual_add_f32 v2, v2, v61
	v_dual_add_f32 v23, v122, v25 :: v_dual_add_f32 v14, v35, v31
	;; [unrolled: 1-line block ×7, first 2 shown]
	v_add_f32_e32 v5, v94, v5
	s_delay_alu instid0(VALU_DEP_4)
	v_dual_add_f32 v7, v98, v8 :: v_dual_add_f32 v18, v128, v29
	v_dual_add_f32 v8, v103, v9 :: v_dual_add_f32 v9, v108, v11
	;; [unrolled: 1-line block ×3, first 2 shown]
	v_add_f32_e32 v14, v42, v14
	v_dual_add_f32 v13, v118, v22 :: v_dual_add_f32 v34, v15, v4
	v_dual_add_f32 v19, v123, v23 :: v_dual_add_f32 v32, v88, v6
	v_add_f32_e32 v22, v75, v24
	v_add_f32_e32 v24, v65, v27
	v_dual_add_f32 v27, v133, v30 :: v_dual_add_f32 v30, v2, v59
	v_dual_add_f32 v29, v0, v1 :: v_dual_add_f32 v2, v114, v11
	v_add_f32_e32 v23, v80, v25
	v_dual_add_f32 v25, v70, v28 :: v_dual_add_f32 v4, v124, v19
	v_add_f32_e32 v28, v138, v31
	v_dual_add_f32 v31, v85, v3 :: v_dual_add_f32 v0, v104, v8
	s_delay_alu instid0(VALU_DEP_4)
	v_dual_add_f32 v33, v95, v5 :: v_dual_add_f32 v6, v81, v23
	v_add_f32_e32 v1, v99, v7
	v_add_f32_e32 v3, v109, v9
	;; [unrolled: 1-line block ×9, first 2 shown]
	v_dual_add_f32 v7, v76, v22 :: v_dual_add_f32 v8, v71, v25
	s_delay_alu instid0(VALU_DEP_3)
	v_dual_add_f32 v13, v43, v14 :: v_dual_add_f32 v20, v18, v16
	v_add_f32_e32 v16, v89, v32
	v_add_f32_e32 v18, v21, v34
	v_dual_add_f32 v22, v19, v55 :: v_dual_add_f32 v19, v96, v33
	v_add_f32_e32 v17, v86, v31
	v_dual_add_f32 v15, v134, v27 :: v_dual_add_f32 v14, v139, v28
	s_delay_alu instid0(VALU_DEP_3)
	v_dual_add_f32 v21, v20, v26 :: v_dual_add_f32 v20, v22, v53
	ds_store_2addr_b64 v39, v[12:13], v[10:11] offset0:16 offset1:152
	ds_store_2addr_b64 v49, v[8:9], v[6:7] offset0:32 offset1:168
	;; [unrolled: 1-line block ×4, first 2 shown]
	ds_store_2addr_b64 v48, v[20:21], v[14:15] offset1:136
	ds_store_b64 v48, v[18:19] offset:10880
.LBB0_19:
	s_wait_alu 0xfffe
	s_or_b32 exec_lo, exec_lo, s1
	global_wb scope:SCOPE_SE
	s_wait_dscnt 0x0
	s_barrier_signal -1
	s_barrier_wait -1
	global_inv scope:SCOPE_SE
	ds_load_b64 v[2:3], v48
	v_lshlrev_b32_e32 v0, 3, v38
	s_mov_b32 s1, exec_lo
                                        ; implicit-def: $vgpr7
                                        ; implicit-def: $vgpr8
                                        ; implicit-def: $vgpr4_vgpr5
	s_delay_alu instid0(VALU_DEP_1)
	v_sub_nc_u32_e32 v6, 0, v0
                                        ; implicit-def: $vgpr0
	v_cmpx_ne_u32_e32 0, v38
	s_wait_alu 0xfffe
	s_xor_b32 s1, exec_lo, s1
	s_cbranch_execz .LBB0_21
; %bb.20:
	ds_load_b64 v[4:5], v6 offset:11968
	s_wait_dscnt 0x0
	v_dual_mov_b32 v39, 0 :: v_dual_add_f32 v8, v5, v3
	s_delay_alu instid0(VALU_DEP_1) | instskip(SKIP_2) | instid1(VALU_DEP_2)
	v_lshlrev_b64_e32 v[0:1], 3, v[38:39]
	v_dual_sub_f32 v7, v2, v4 :: v_dual_add_f32 v2, v4, v2
	v_sub_f32_e32 v3, v3, v5
	v_mul_f32_e32 v5, 0.5, v7
	s_delay_alu instid0(VALU_DEP_4)
	v_add_co_u32 v0, s0, s8, v0
	s_wait_alu 0xf1ff
	v_add_co_ci_u32_e64 v1, s0, s9, v1, s0
	v_mul_f32_e32 v3, 0.5, v3
	global_load_b64 v[0:1], v[0:1], off offset:11832
	s_wait_loadcnt 0x0
	v_dual_mul_f32 v9, 0.5, v8 :: v_dual_mul_f32 v4, v1, v5
	s_delay_alu instid0(VALU_DEP_1) | instskip(SKIP_1) | instid1(VALU_DEP_3)
	v_fma_f32 v8, v9, v1, v3
	v_fma_f32 v1, v9, v1, -v3
	v_fma_f32 v7, 0.5, v2, v4
	v_fma_f32 v2, v2, 0.5, -v4
	s_delay_alu instid0(VALU_DEP_4) | instskip(NEXT) | instid1(VALU_DEP_4)
	v_fma_f32 v8, -v0, v5, v8
	v_fma_f32 v1, -v0, v5, v1
	s_delay_alu instid0(VALU_DEP_4) | instskip(NEXT) | instid1(VALU_DEP_4)
	v_dual_mov_b32 v4, v38 :: v_dual_fmac_f32 v7, v0, v9
	v_fma_f32 v0, -v0, v9, v2
	v_mov_b32_e32 v5, v39
                                        ; implicit-def: $vgpr2_vgpr3
.LBB0_21:
	s_wait_alu 0xfffe
	s_and_not1_saveexec_b32 s0, s1
	s_cbranch_execz .LBB0_23
; %bb.22:
	s_wait_dscnt 0x0
	v_dual_mov_b32 v8, 0 :: v_dual_add_f32 v7, v2, v3
	v_mov_b32_e32 v4, 0
	v_dual_sub_f32 v0, v2, v3 :: v_dual_mov_b32 v5, 0
	ds_load_b32 v1, v8 offset:5988
	s_wait_dscnt 0x0
	v_xor_b32_e32 v2, 0x80000000, v1
	v_mov_b32_e32 v1, 0
	ds_store_b32 v8, v2 offset:5988
.LBB0_23:
	s_wait_alu 0xfffe
	s_or_b32 exec_lo, exec_lo, s0
	s_wait_dscnt 0x0
	v_lshlrev_b64_e32 v[2:3], 3, v[4:5]
	s_add_nc_u64 s[0:1], s[8:9], 0x2e38
	s_wait_alu 0xfffe
	s_delay_alu instid0(VALU_DEP_1) | instskip(SKIP_1) | instid1(VALU_DEP_2)
	v_add_co_u32 v2, s0, s0, v2
	s_wait_alu 0xf1ff
	v_add_co_ci_u32_e64 v3, s0, s1, v3, s0
	s_clause 0x2
	global_load_b64 v[4:5], v[2:3], off offset:1496
	global_load_b64 v[9:10], v[2:3], off offset:2992
	;; [unrolled: 1-line block ×3, first 2 shown]
	ds_store_2addr_b32 v48, v7, v8 offset1:1
	ds_store_b64 v6, v[0:1] offset:11968
	ds_load_b64 v[0:1], v48 offset:1496
	ds_load_b64 v[7:8], v6 offset:10472
	s_wait_dscnt 0x0
	v_dual_sub_f32 v11, v0, v7 :: v_dual_add_f32 v12, v1, v8
	v_dual_sub_f32 v1, v1, v8 :: v_dual_add_f32 v0, v0, v7
	s_delay_alu instid0(VALU_DEP_2) | instskip(NEXT) | instid1(VALU_DEP_2)
	v_dual_mul_f32 v8, 0.5, v11 :: v_dual_mul_f32 v11, 0.5, v12
	v_mul_f32_e32 v1, 0.5, v1
	s_wait_loadcnt 0x2
	s_delay_alu instid0(VALU_DEP_2) | instskip(NEXT) | instid1(VALU_DEP_2)
	v_mul_f32_e32 v7, v5, v8
	v_fma_f32 v12, v11, v5, v1
	v_fma_f32 v1, v11, v5, -v1
	s_delay_alu instid0(VALU_DEP_3)
	v_fma_f32 v5, 0.5, v0, v7
	v_fma_f32 v0, v0, 0.5, -v7
	v_add_nc_u32_e32 v7, 0x400, v48
	v_fma_f32 v12, -v4, v8, v12
	v_fma_f32 v1, -v4, v8, v1
	v_fmac_f32_e32 v5, v4, v11
	v_fma_f32 v0, -v4, v11, v0
	ds_store_2addr_b32 v7, v5, v12 offset0:118 offset1:119
	ds_store_b64 v6, v[0:1] offset:10472
	ds_load_b64 v[0:1], v48 offset:2992
	ds_load_b64 v[4:5], v6 offset:8976
	s_wait_dscnt 0x0
	v_dual_sub_f32 v7, v0, v4 :: v_dual_add_f32 v8, v1, v5
	v_dual_sub_f32 v1, v1, v5 :: v_dual_add_f32 v0, v0, v4
	s_delay_alu instid0(VALU_DEP_2) | instskip(NEXT) | instid1(VALU_DEP_3)
	v_mul_f32_e32 v5, 0.5, v7
	v_mul_f32_e32 v7, 0.5, v8
	s_delay_alu instid0(VALU_DEP_3) | instskip(SKIP_1) | instid1(VALU_DEP_3)
	v_mul_f32_e32 v1, 0.5, v1
	s_wait_loadcnt 0x1
	v_mul_f32_e32 v4, v10, v5
	s_delay_alu instid0(VALU_DEP_2) | instskip(SKIP_1) | instid1(VALU_DEP_3)
	v_fma_f32 v8, v7, v10, v1
	v_fma_f32 v1, v7, v10, -v1
	v_fma_f32 v10, 0.5, v0, v4
	v_fma_f32 v0, v0, 0.5, -v4
	v_add_nc_u32_e32 v4, 0x800, v48
	v_fma_f32 v8, -v9, v5, v8
	v_fma_f32 v1, -v9, v5, v1
	v_fmac_f32_e32 v10, v9, v7
	v_fma_f32 v0, -v9, v7, v0
	ds_store_2addr_b32 v4, v10, v8 offset0:236 offset1:237
	ds_store_b64 v6, v[0:1] offset:8976
	ds_load_b64 v[0:1], v48 offset:4488
	ds_load_b64 v[4:5], v6 offset:7480
	s_wait_dscnt 0x0
	v_dual_sub_f32 v7, v0, v4 :: v_dual_add_f32 v8, v1, v5
	v_dual_sub_f32 v1, v1, v5 :: v_dual_add_f32 v0, v0, v4
	s_delay_alu instid0(VALU_DEP_2) | instskip(NEXT) | instid1(VALU_DEP_3)
	v_mul_f32_e32 v5, 0.5, v7
	v_mul_f32_e32 v7, 0.5, v8
	s_delay_alu instid0(VALU_DEP_3) | instskip(SKIP_1) | instid1(VALU_DEP_3)
	v_mul_f32_e32 v1, 0.5, v1
	s_wait_loadcnt 0x0
	v_mul_f32_e32 v4, v3, v5
	s_delay_alu instid0(VALU_DEP_2) | instskip(SKIP_1) | instid1(VALU_DEP_3)
	v_fma_f32 v8, v7, v3, v1
	v_fma_f32 v1, v7, v3, -v1
	v_fma_f32 v3, 0.5, v0, v4
	v_fma_f32 v0, v0, 0.5, -v4
	v_add_nc_u32_e32 v4, 0x1000, v48
	v_fma_f32 v8, -v2, v5, v8
	v_fma_f32 v1, -v2, v5, v1
	v_fmac_f32_e32 v3, v2, v7
	v_fma_f32 v0, -v2, v7, v0
	ds_store_2addr_b32 v4, v3, v8 offset0:98 offset1:99
	ds_store_b64 v6, v[0:1] offset:7480
	global_wb scope:SCOPE_SE
	s_wait_dscnt 0x0
	s_barrier_signal -1
	s_barrier_wait -1
	global_inv scope:SCOPE_SE
	s_and_saveexec_b32 s0, vcc_lo
	s_cbranch_execz .LBB0_26
; %bb.24:
	v_mul_lo_u32 v2, s3, v40
	v_mul_lo_u32 v3, s2, v41
	v_mad_co_u64_u32 v[0:1], null, s2, v40, 0
	v_dual_mov_b32 v39, 0 :: v_dual_add_nc_u32 v8, 0xbb, v38
	v_lshl_add_u32 v20, v38, 3, 0
	v_lshlrev_b64_e32 v[6:7], 3, v[36:37]
	s_delay_alu instid0(VALU_DEP_3) | instskip(SKIP_1) | instid1(VALU_DEP_4)
	v_dual_mov_b32 v9, v39 :: v_dual_add_nc_u32 v10, 0x176, v38
	v_add3_u32 v1, v1, v3, v2
	v_dual_mov_b32 v11, v39 :: v_dual_add_nc_u32 v16, 0xa00, v20
	ds_load_2addr_b64 v[2:5], v20 offset1:187
	v_lshlrev_b64_e32 v[12:13], 3, v[38:39]
	v_lshlrev_b64_e32 v[0:1], 3, v[0:1]
	v_lshlrev_b64_e32 v[14:15], 3, v[8:9]
	v_lshlrev_b64_e32 v[10:11], 3, v[10:11]
	v_dual_mov_b32 v19, v39 :: v_dual_add_nc_u32 v18, 0x2ec, v38
	v_add_nc_u32_e32 v21, 0x1600, v20
	v_add_co_u32 v0, vcc_lo, s6, v0
	s_wait_alu 0xfffd
	v_add_co_ci_u32_e32 v1, vcc_lo, s7, v1, vcc_lo
	v_mov_b32_e32 v17, v39
	s_delay_alu instid0(VALU_DEP_3) | instskip(SKIP_1) | instid1(VALU_DEP_3)
	v_add_co_u32 v0, vcc_lo, v0, v6
	s_wait_alu 0xfffd
	v_add_co_ci_u32_e32 v1, vcc_lo, v1, v7, vcc_lo
	ds_load_2addr_b64 v[6:9], v16 offset0:54 offset1:241
	v_add_nc_u32_e32 v16, 0x231, v38
	v_add_co_u32 v12, vcc_lo, v0, v12
	s_wait_alu 0xfffd
	v_add_co_ci_u32_e32 v13, vcc_lo, v1, v13, vcc_lo
	v_add_co_u32 v14, vcc_lo, v0, v14
	v_lshlrev_b64_e32 v[16:17], 3, v[16:17]
	s_wait_alu 0xfffd
	v_add_co_ci_u32_e32 v15, vcc_lo, v1, v15, vcc_lo
	v_add_co_u32 v10, vcc_lo, v0, v10
	s_wait_alu 0xfffd
	v_add_co_ci_u32_e32 v11, vcc_lo, v1, v11, vcc_lo
	v_add_co_u32 v16, vcc_lo, v0, v16
	s_wait_alu 0xfffd
	v_add_co_ci_u32_e32 v17, vcc_lo, v1, v17, vcc_lo
	s_wait_dscnt 0x1
	s_clause 0x1
	global_store_b64 v[12:13], v[2:3], off
	global_store_b64 v[14:15], v[4:5], off
	s_wait_dscnt 0x0
	s_clause 0x1
	global_store_b64 v[10:11], v[6:7], off
	global_store_b64 v[16:17], v[8:9], off
	v_lshlrev_b64_e32 v[6:7], 3, v[18:19]
	v_dual_mov_b32 v9, v39 :: v_dual_add_nc_u32 v8, 0x3a7, v38
	v_dual_mov_b32 v17, v39 :: v_dual_add_nc_u32 v16, 0x2200, v20
	;; [unrolled: 1-line block ×3, first 2 shown]
	s_delay_alu instid0(VALU_DEP_4)
	v_add_co_u32 v12, vcc_lo, v0, v6
	ds_load_2addr_b64 v[2:5], v21 offset0:44 offset1:231
	v_lshlrev_b64_e32 v[14:15], 3, v[8:9]
	s_wait_alu 0xfffd
	v_add_co_ci_u32_e32 v13, vcc_lo, v1, v7, vcc_lo
	ds_load_2addr_b64 v[6:9], v16 offset0:34 offset1:221
	v_add_nc_u32_e32 v16, 0x51d, v38
	v_lshlrev_b64_e32 v[10:11], 3, v[10:11]
	v_add_co_u32 v14, vcc_lo, v0, v14
	s_wait_alu 0xfffd
	v_add_co_ci_u32_e32 v15, vcc_lo, v1, v15, vcc_lo
	v_lshlrev_b64_e32 v[16:17], 3, v[16:17]
	s_delay_alu instid0(VALU_DEP_4) | instskip(SKIP_2) | instid1(VALU_DEP_3)
	v_add_co_u32 v10, vcc_lo, v0, v10
	s_wait_alu 0xfffd
	v_add_co_ci_u32_e32 v11, vcc_lo, v1, v11, vcc_lo
	v_add_co_u32 v16, vcc_lo, v0, v16
	s_wait_alu 0xfffd
	v_add_co_ci_u32_e32 v17, vcc_lo, v1, v17, vcc_lo
	v_cmp_eq_u32_e32 vcc_lo, 0xba, v38
	s_wait_dscnt 0x1
	s_clause 0x1
	global_store_b64 v[12:13], v[2:3], off
	global_store_b64 v[14:15], v[4:5], off
	s_wait_dscnt 0x0
	s_clause 0x1
	global_store_b64 v[10:11], v[6:7], off
	global_store_b64 v[16:17], v[8:9], off
	s_and_b32 exec_lo, exec_lo, vcc_lo
	s_cbranch_execz .LBB0_26
; %bb.25:
	ds_load_b64 v[2:3], v39 offset:11968
	s_wait_dscnt 0x0
	global_store_b64 v[0:1], v[2:3], off offset:11968
.LBB0_26:
	s_nop 0
	s_sendmsg sendmsg(MSG_DEALLOC_VGPRS)
	s_endpgm
	.section	.rodata,"a",@progbits
	.p2align	6, 0x0
	.amdhsa_kernel fft_rtc_back_len1496_factors_17_8_11_wgs_187_tpt_187_halfLds_sp_op_CI_CI_unitstride_sbrr_R2C_dirReg
		.amdhsa_group_segment_fixed_size 0
		.amdhsa_private_segment_fixed_size 0
		.amdhsa_kernarg_size 104
		.amdhsa_user_sgpr_count 2
		.amdhsa_user_sgpr_dispatch_ptr 0
		.amdhsa_user_sgpr_queue_ptr 0
		.amdhsa_user_sgpr_kernarg_segment_ptr 1
		.amdhsa_user_sgpr_dispatch_id 0
		.amdhsa_user_sgpr_private_segment_size 0
		.amdhsa_wavefront_size32 1
		.amdhsa_uses_dynamic_stack 0
		.amdhsa_enable_private_segment 0
		.amdhsa_system_sgpr_workgroup_id_x 1
		.amdhsa_system_sgpr_workgroup_id_y 0
		.amdhsa_system_sgpr_workgroup_id_z 0
		.amdhsa_system_sgpr_workgroup_info 0
		.amdhsa_system_vgpr_workitem_id 0
		.amdhsa_next_free_vgpr 145
		.amdhsa_next_free_sgpr 39
		.amdhsa_reserve_vcc 1
		.amdhsa_float_round_mode_32 0
		.amdhsa_float_round_mode_16_64 0
		.amdhsa_float_denorm_mode_32 3
		.amdhsa_float_denorm_mode_16_64 3
		.amdhsa_fp16_overflow 0
		.amdhsa_workgroup_processor_mode 1
		.amdhsa_memory_ordered 1
		.amdhsa_forward_progress 0
		.amdhsa_round_robin_scheduling 0
		.amdhsa_exception_fp_ieee_invalid_op 0
		.amdhsa_exception_fp_denorm_src 0
		.amdhsa_exception_fp_ieee_div_zero 0
		.amdhsa_exception_fp_ieee_overflow 0
		.amdhsa_exception_fp_ieee_underflow 0
		.amdhsa_exception_fp_ieee_inexact 0
		.amdhsa_exception_int_div_zero 0
	.end_amdhsa_kernel
	.text
.Lfunc_end0:
	.size	fft_rtc_back_len1496_factors_17_8_11_wgs_187_tpt_187_halfLds_sp_op_CI_CI_unitstride_sbrr_R2C_dirReg, .Lfunc_end0-fft_rtc_back_len1496_factors_17_8_11_wgs_187_tpt_187_halfLds_sp_op_CI_CI_unitstride_sbrr_R2C_dirReg
                                        ; -- End function
	.section	.AMDGPU.csdata,"",@progbits
; Kernel info:
; codeLenInByte = 12028
; NumSgprs: 41
; NumVgprs: 145
; ScratchSize: 0
; MemoryBound: 0
; FloatMode: 240
; IeeeMode: 1
; LDSByteSize: 0 bytes/workgroup (compile time only)
; SGPRBlocks: 5
; VGPRBlocks: 18
; NumSGPRsForWavesPerEU: 41
; NumVGPRsForWavesPerEU: 145
; Occupancy: 9
; WaveLimiterHint : 1
; COMPUTE_PGM_RSRC2:SCRATCH_EN: 0
; COMPUTE_PGM_RSRC2:USER_SGPR: 2
; COMPUTE_PGM_RSRC2:TRAP_HANDLER: 0
; COMPUTE_PGM_RSRC2:TGID_X_EN: 1
; COMPUTE_PGM_RSRC2:TGID_Y_EN: 0
; COMPUTE_PGM_RSRC2:TGID_Z_EN: 0
; COMPUTE_PGM_RSRC2:TIDIG_COMP_CNT: 0
	.text
	.p2alignl 7, 3214868480
	.fill 96, 4, 3214868480
	.type	__hip_cuid_62ac075505d53e29,@object ; @__hip_cuid_62ac075505d53e29
	.section	.bss,"aw",@nobits
	.globl	__hip_cuid_62ac075505d53e29
__hip_cuid_62ac075505d53e29:
	.byte	0                               ; 0x0
	.size	__hip_cuid_62ac075505d53e29, 1

	.ident	"AMD clang version 19.0.0git (https://github.com/RadeonOpenCompute/llvm-project roc-6.4.0 25133 c7fe45cf4b819c5991fe208aaa96edf142730f1d)"
	.section	".note.GNU-stack","",@progbits
	.addrsig
	.addrsig_sym __hip_cuid_62ac075505d53e29
	.amdgpu_metadata
---
amdhsa.kernels:
  - .args:
      - .actual_access:  read_only
        .address_space:  global
        .offset:         0
        .size:           8
        .value_kind:     global_buffer
      - .offset:         8
        .size:           8
        .value_kind:     by_value
      - .actual_access:  read_only
        .address_space:  global
        .offset:         16
        .size:           8
        .value_kind:     global_buffer
      - .actual_access:  read_only
        .address_space:  global
        .offset:         24
        .size:           8
        .value_kind:     global_buffer
      - .actual_access:  read_only
        .address_space:  global
        .offset:         32
        .size:           8
        .value_kind:     global_buffer
      - .offset:         40
        .size:           8
        .value_kind:     by_value
      - .actual_access:  read_only
        .address_space:  global
        .offset:         48
        .size:           8
        .value_kind:     global_buffer
      - .actual_access:  read_only
        .address_space:  global
        .offset:         56
        .size:           8
        .value_kind:     global_buffer
      - .offset:         64
        .size:           4
        .value_kind:     by_value
      - .actual_access:  read_only
        .address_space:  global
        .offset:         72
        .size:           8
        .value_kind:     global_buffer
      - .actual_access:  read_only
        .address_space:  global
        .offset:         80
        .size:           8
        .value_kind:     global_buffer
      - .actual_access:  read_only
        .address_space:  global
        .offset:         88
        .size:           8
        .value_kind:     global_buffer
      - .actual_access:  write_only
        .address_space:  global
        .offset:         96
        .size:           8
        .value_kind:     global_buffer
    .group_segment_fixed_size: 0
    .kernarg_segment_align: 8
    .kernarg_segment_size: 104
    .language:       OpenCL C
    .language_version:
      - 2
      - 0
    .max_flat_workgroup_size: 187
    .name:           fft_rtc_back_len1496_factors_17_8_11_wgs_187_tpt_187_halfLds_sp_op_CI_CI_unitstride_sbrr_R2C_dirReg
    .private_segment_fixed_size: 0
    .sgpr_count:     41
    .sgpr_spill_count: 0
    .symbol:         fft_rtc_back_len1496_factors_17_8_11_wgs_187_tpt_187_halfLds_sp_op_CI_CI_unitstride_sbrr_R2C_dirReg.kd
    .uniform_work_group_size: 1
    .uses_dynamic_stack: false
    .vgpr_count:     145
    .vgpr_spill_count: 0
    .wavefront_size: 32
    .workgroup_processor_mode: 1
amdhsa.target:   amdgcn-amd-amdhsa--gfx1201
amdhsa.version:
  - 1
  - 2
...

	.end_amdgpu_metadata
